;; amdgpu-corpus repo=ROCm/rocSPARSE kind=compiled arch=gfx1201 opt=O3
	.amdgcn_target "amdgcn-amd-amdhsa--gfx1201"
	.amdhsa_code_object_version 6
	.section	.text._ZN9rocsparseL39bsrgeam_wf_per_row_multipass_2_3_kernelILj256ELj2ELj32EfEEv20rocsparse_direction_iiiNS_24const_host_device_scalarIT2_EEPKiS6_PKS3_S4_S6_S6_S8_S6_PiPS3_21rocsparse_index_base_SB_SB_b,"axG",@progbits,_ZN9rocsparseL39bsrgeam_wf_per_row_multipass_2_3_kernelILj256ELj2ELj32EfEEv20rocsparse_direction_iiiNS_24const_host_device_scalarIT2_EEPKiS6_PKS3_S4_S6_S6_S8_S6_PiPS3_21rocsparse_index_base_SB_SB_b,comdat
	.globl	_ZN9rocsparseL39bsrgeam_wf_per_row_multipass_2_3_kernelILj256ELj2ELj32EfEEv20rocsparse_direction_iiiNS_24const_host_device_scalarIT2_EEPKiS6_PKS3_S4_S6_S6_S8_S6_PiPS3_21rocsparse_index_base_SB_SB_b ; -- Begin function _ZN9rocsparseL39bsrgeam_wf_per_row_multipass_2_3_kernelILj256ELj2ELj32EfEEv20rocsparse_direction_iiiNS_24const_host_device_scalarIT2_EEPKiS6_PKS3_S4_S6_S6_S8_S6_PiPS3_21rocsparse_index_base_SB_SB_b
	.p2align	8
	.type	_ZN9rocsparseL39bsrgeam_wf_per_row_multipass_2_3_kernelILj256ELj2ELj32EfEEv20rocsparse_direction_iiiNS_24const_host_device_scalarIT2_EEPKiS6_PKS3_S4_S6_S6_S8_S6_PiPS3_21rocsparse_index_base_SB_SB_b,@function
_ZN9rocsparseL39bsrgeam_wf_per_row_multipass_2_3_kernelILj256ELj2ELj32EfEEv20rocsparse_direction_iiiNS_24const_host_device_scalarIT2_EEPKiS6_PKS3_S4_S6_S6_S8_S6_PiPS3_21rocsparse_index_base_SB_SB_b: ; @_ZN9rocsparseL39bsrgeam_wf_per_row_multipass_2_3_kernelILj256ELj2ELj32EfEEv20rocsparse_direction_iiiNS_24const_host_device_scalarIT2_EEPKiS6_PKS3_S4_S6_S6_S8_S6_PiPS3_21rocsparse_index_base_SB_SB_b
; %bb.0:
	s_clause 0x2
	s_load_b128 s[4:7], s[0:1], 0x68
	s_load_b64 s[2:3], s[0:1], 0x10
	s_load_b64 s[24:25], s[0:1], 0x30
	s_wait_kmcnt 0x0
	s_bitcmp1_b32 s7, 0
	s_cselect_b32 s7, -1, 0
	s_delay_alu instid0(SALU_CYCLE_1)
	s_and_b32 vcc_lo, exec_lo, s7
	s_xor_b32 s7, s7, -1
	s_cbranch_vccnz .LBB0_2
; %bb.1:
	s_load_b32 s2, s[2:3], 0x0
.LBB0_2:
	s_and_not1_b32 vcc_lo, exec_lo, s7
	s_cbranch_vccnz .LBB0_4
; %bb.3:
	s_load_b32 s24, s[24:25], 0x0
.LBB0_4:
	s_load_b96 s[20:22], s[0:1], 0x0
	v_lshrrev_b32_e32 v7, 5, v0
	s_lshl_b32 s3, ttmp9, 3
	s_delay_alu instid0(VALU_DEP_1) | instid1(SALU_CYCLE_1)
	v_and_or_b32 v1, 0x7fffff8, s3, v7
	s_mov_b32 s3, exec_lo
	s_wait_kmcnt 0x0
	s_delay_alu instid0(VALU_DEP_1)
	v_cmpx_gt_i32_e64 s21, v1
	s_cbranch_execz .LBB0_39
; %bb.5:
	s_clause 0x2
	s_load_b128 s[8:11], s[0:1], 0x18
	s_load_b128 s[12:15], s[0:1], 0x38
	s_load_b64 s[16:17], s[0:1], 0x50
	v_lshlrev_b32_e32 v1, 2, v1
	s_wait_kmcnt 0x0
	s_clause 0x2
	global_load_b64 v[5:6], v1, s[8:9]
	global_load_b64 v[3:4], v1, s[12:13]
	global_load_b32 v8, v1, s[16:17]
	s_wait_loadcnt 0x2
	v_subrev_nc_u32_e32 v1, s4, v5
	v_cmp_lt_i32_e32 vcc_lo, v5, v6
	v_mov_b32_e32 v5, s22
	s_and_saveexec_b32 s3, vcc_lo
	s_cbranch_execz .LBB0_7
; %bb.6:
	v_ashrrev_i32_e32 v2, 31, v1
	s_delay_alu instid0(VALU_DEP_1) | instskip(NEXT) | instid1(VALU_DEP_1)
	v_lshlrev_b64_e32 v[9:10], 2, v[1:2]
	v_add_co_u32 v9, vcc_lo, s10, v9
	s_delay_alu instid0(VALU_DEP_1)
	v_add_co_ci_u32_e64 v10, null, s11, v10, vcc_lo
	global_load_b32 v2, v[9:10], off
	s_wait_loadcnt 0x0
	v_subrev_nc_u32_e32 v5, s4, v2
.LBB0_7:
	s_wait_alu 0xfffe
	s_or_b32 exec_lo, exec_lo, s3
	s_clause 0x2
	s_load_b128 s[16:19], s[0:1], 0x58
	s_load_b64 s[8:9], s[0:1], 0x28
	s_load_b64 s[12:13], s[0:1], 0x48
	s_wait_loadcnt 0x1
	v_subrev_nc_u32_e32 v2, s5, v3
	v_cmp_lt_i32_e32 vcc_lo, v3, v4
	v_mov_b32_e32 v3, s22
	s_and_saveexec_b32 s0, vcc_lo
	s_cbranch_execz .LBB0_9
; %bb.8:
	v_ashrrev_i32_e32 v3, 31, v2
	s_delay_alu instid0(VALU_DEP_1) | instskip(NEXT) | instid1(VALU_DEP_1)
	v_lshlrev_b64_e32 v[9:10], 2, v[2:3]
	v_add_co_u32 v9, vcc_lo, s14, v9
	s_wait_alu 0xfffd
	s_delay_alu instid0(VALU_DEP_2)
	v_add_co_ci_u32_e64 v10, null, s15, v10, vcc_lo
	global_load_b32 v3, v[9:10], off
	s_wait_loadcnt 0x0
	v_subrev_nc_u32_e32 v3, s5, v3
.LBB0_9:
	s_or_b32 exec_lo, exec_lo, s0
	s_movk_i32 s0, 0xe0
	v_lshlrev_b32_e32 v14, 9, v7
	v_and_or_b32 v15, v0, s0, 0x1000
	v_mbcnt_lo_u32_b32 v7, -1, 0
	v_and_b32_e32 v0, 31, v0
	v_subrev_nc_u32_e32 v17, s5, v4
	v_min_i32_e32 v23, v3, v5
	v_subrev_nc_u32_e32 v16, s4, v6
	v_xor_b32_e32 v3, 2, v7
	v_add_nc_u32_e32 v4, v1, v0
	v_xor_b32_e32 v1, 16, v7
	v_xor_b32_e32 v5, 1, v7
	v_add_nc_u32_e32 v6, v2, v0
	v_xor_b32_e32 v2, 31, v0
	s_cmp_lg_u32 s20, 0
	v_cmp_gt_i32_e32 vcc_lo, 32, v1
	s_cselect_b32 s1, -1, 0
	s_cmp_eq_u32 s20, 0
	v_lshrrev_b32_e64 v20, v2, -1
	v_xor_b32_e32 v2, 8, v7
	s_wait_alu 0xfffd
	v_cndmask_b32_e32 v1, v7, v1, vcc_lo
	s_cselect_b32 s0, 4, 8
	v_mov_b32_e32 v9, 0
	s_cselect_b32 s3, 8, 4
	v_cmp_gt_i32_e32 vcc_lo, 32, v2
	v_lshlrev_b32_e32 v22, 2, v1
	v_xor_b32_e32 v1, 4, v7
	s_wait_loadcnt 0x0
	v_subrev_nc_u32_e32 v18, s6, v8
	s_wait_alu 0xfffd
	v_dual_mov_b32 v29, 1 :: v_dual_cndmask_b32 v2, v7, v2
	v_cmp_gt_i32_e32 vcc_lo, 32, v1
	s_wait_alu 0xfffd
	v_cndmask_b32_e32 v1, v7, v1, vcc_lo
	v_cmp_gt_i32_e32 vcc_lo, 32, v3
	v_lshl_or_b32 v19, v0, 4, v14
	v_add_nc_u32_e32 v21, s6, v0
	v_add_nc_u32_e32 v28, v15, v0
	v_lshlrev_b32_e32 v25, 2, v1
	s_wait_alu 0xfffd
	v_cndmask_b32_e32 v3, v7, v3, vcc_lo
	v_cmp_gt_i32_e32 vcc_lo, 32, v5
	v_dual_mov_b32 v1, v9 :: v_dual_lshlrev_b32 v24, 2, v2
	v_mov_b32_e32 v0, v9
	s_delay_alu instid0(VALU_DEP_4)
	v_dual_mov_b32 v3, v9 :: v_dual_lshlrev_b32 v26, 2, v3
	s_wait_alu 0xfffd
	v_dual_cndmask_b32 v5, v7, v5 :: v_dual_mov_b32 v2, v9
	s_wait_alu 0xfffe
	v_add_nc_u32_e32 v30, s0, v19
	v_add_nc_u32_e32 v31, s3, v19
	s_mov_b32 s3, 0
	v_lshlrev_b32_e32 v27, 2, v5
	s_branch .LBB0_11
.LBB0_10:                               ;   in Loop: Header=BB0_11 Depth=1
	s_wait_alu 0xfffe
	s_or_b32 exec_lo, exec_lo, s6
	ds_bpermute_b32 v5, v22, v32
	s_bcnt1_i32_b32 s6, vcc_lo
	s_wait_alu 0xfffe
	v_add_nc_u32_e32 v18, s6, v18
	s_wait_dscnt 0x0
	v_min_i32_e32 v5, v5, v32
	ds_bpermute_b32 v7, v24, v5
	s_wait_dscnt 0x0
	v_min_i32_e32 v5, v7, v5
	ds_bpermute_b32 v7, v25, v5
	;; [unrolled: 3-line block ×4, first 2 shown]
	s_wait_dscnt 0x0
	v_min_i32_e32 v23, v7, v5
	s_delay_alu instid0(VALU_DEP_1)
	v_cmp_le_i32_e64 s0, s22, v23
	s_or_b32 s3, s0, s3
	s_wait_alu 0xfffe
	s_and_not1_b32 exec_lo, exec_lo, s3
	s_cbranch_execz .LBB0_39
.LBB0_11:                               ; =>This Loop Header: Depth=1
                                        ;     Child Loop BB0_14 Depth 2
                                        ;     Child Loop BB0_27 Depth 2
	v_mov_b32_e32 v32, s22
	s_mov_b32 s6, exec_lo
	ds_store_b8 v28, v9
	ds_store_b128 v19, v[0:3]
	s_wait_dscnt 0x0
	global_inv scope:SCOPE_SE
	v_cmpx_lt_i32_e64 v4, v16
	s_cbranch_execz .LBB0_24
; %bb.12:                               ;   in Loop: Header=BB0_11 Depth=1
	v_lshlrev_b32_e32 v8, 2, v4
	v_mov_b32_e32 v32, s22
	s_mov_b32 s7, 0
	s_branch .LBB0_14
.LBB0_13:                               ;   in Loop: Header=BB0_14 Depth=2
	s_wait_alu 0xfffe
	s_or_b32 exec_lo, exec_lo, s21
	s_delay_alu instid0(SALU_CYCLE_1)
	s_and_b32 s0, exec_lo, s20
	s_wait_alu 0xfffe
	s_or_b32 s7, s0, s7
	s_wait_alu 0xfffe
	s_and_not1_b32 exec_lo, exec_lo, s7
	s_cbranch_execz .LBB0_23
.LBB0_14:                               ;   Parent Loop BB0_11 Depth=1
                                        ; =>  This Inner Loop Header: Depth=2
	v_ashrrev_i32_e32 v5, 31, v4
	s_mov_b32 s20, exec_lo
	s_delay_alu instid0(VALU_DEP_1) | instskip(NEXT) | instid1(VALU_DEP_1)
	v_lshlrev_b64_e32 v[10:11], 2, v[4:5]
	v_add_co_u32 v10, vcc_lo, s10, v10
	s_wait_alu 0xfffd
	s_delay_alu instid0(VALU_DEP_2) | instskip(SKIP_3) | instid1(VALU_DEP_1)
	v_add_co_ci_u32_e64 v11, null, s11, v11, vcc_lo
	global_load_b32 v5, v[10:11], off
	s_wait_loadcnt 0x0
	v_subrev_nc_u32_e32 v7, s4, v5
	v_sub_nc_u32_e32 v5, v7, v23
	s_delay_alu instid0(VALU_DEP_1)
	v_cmp_gt_u32_e64 s0, 32, v5
	v_cmpx_lt_u32_e32 31, v5
	s_wait_alu 0xfffe
	s_xor_b32 s20, exec_lo, s20
; %bb.15:                               ;   in Loop: Header=BB0_14 Depth=2
	v_min_i32_e32 v32, v7, v32
                                        ; implicit-def: $vgpr5
; %bb.16:                               ;   in Loop: Header=BB0_14 Depth=2
	s_wait_alu 0xfffe
	s_and_not1_saveexec_b32 s20, s20
	s_cbranch_execz .LBB0_21
; %bb.17:                               ;   in Loop: Header=BB0_14 Depth=2
	v_lshlrev_b64_e32 v[10:11], 2, v[8:9]
	v_add_nc_u32_e32 v13, v15, v5
	s_mov_b32 s21, -1
	s_wait_kmcnt 0x0
	s_delay_alu instid0(VALU_DEP_2)
	v_add_co_u32 v10, vcc_lo, s8, v10
	s_wait_alu 0xfffd
	v_add_co_ci_u32_e64 v11, null, s9, v11, vcc_lo
	s_and_not1_b32 vcc_lo, exec_lo, s1
	global_load_b32 v7, v[10:11], off
	s_wait_loadcnt 0x0
	v_dual_mul_f32 v7, s2, v7 :: v_dual_lshlrev_b32 v12, 4, v5
	s_delay_alu instid0(VALU_DEP_1)
	v_add_nc_u32_e32 v5, v14, v12
	ds_store_b8 v13, v29
	ds_store_b32 v5, v7
	s_wait_alu 0xfffe
	s_cbranch_vccnz .LBB0_19
; %bb.18:                               ;   in Loop: Header=BB0_14 Depth=2
	global_load_b96 v[33:35], v[10:11], off offset:4
	s_mov_b32 s21, 0
	s_wait_loadcnt 0x0
	v_dual_mul_f32 v7, s2, v34 :: v_dual_mul_f32 v12, s2, v33
	v_mul_f32_e32 v13, s2, v35
	ds_store_2addr_b32 v5, v7, v12 offset0:1 offset1:2
	ds_store_b32 v5, v13 offset:12
.LBB0_19:                               ;   in Loop: Header=BB0_14 Depth=2
	s_wait_alu 0xfffe
	s_and_not1_b32 vcc_lo, exec_lo, s21
	s_wait_alu 0xfffe
	s_cbranch_vccnz .LBB0_21
; %bb.20:                               ;   in Loop: Header=BB0_14 Depth=2
	global_load_b96 v[10:12], v[10:11], off offset:4
	s_wait_loadcnt 0x0
	v_dual_mul_f32 v7, s2, v10 :: v_dual_mul_f32 v10, s2, v11
	v_mul_f32_e32 v11, s2, v12
	ds_store_2addr_b32 v5, v7, v10 offset0:1 offset1:2
	ds_store_b32 v5, v11 offset:12
.LBB0_21:                               ;   in Loop: Header=BB0_14 Depth=2
	s_wait_alu 0xfffe
	s_or_b32 exec_lo, exec_lo, s20
	s_mov_b32 s20, -1
	s_and_saveexec_b32 s21, s0
	s_cbranch_execz .LBB0_13
; %bb.22:                               ;   in Loop: Header=BB0_14 Depth=2
	v_add_nc_u32_e32 v4, 32, v4
	v_add_nc_u32_e32 v8, 0x80, v8
	s_delay_alu instid0(VALU_DEP_2)
	v_cmp_ge_i32_e32 vcc_lo, v4, v16
	s_or_not1_b32 s20, vcc_lo, exec_lo
	s_branch .LBB0_13
.LBB0_23:                               ;   in Loop: Header=BB0_11 Depth=1
	s_or_b32 exec_lo, exec_lo, s7
.LBB0_24:                               ;   in Loop: Header=BB0_11 Depth=1
	s_wait_alu 0xfffe
	s_or_b32 exec_lo, exec_lo, s6
	s_delay_alu instid0(SALU_CYCLE_1)
	s_mov_b32 s6, exec_lo
	s_wait_loadcnt_dscnt 0x0
	global_inv scope:SCOPE_SE
	v_cmpx_lt_i32_e64 v6, v17
	s_cbranch_execz .LBB0_37
; %bb.25:                               ;   in Loop: Header=BB0_11 Depth=1
	v_lshlrev_b32_e32 v8, 2, v6
	s_mov_b32 s7, 0
	s_branch .LBB0_27
.LBB0_26:                               ;   in Loop: Header=BB0_27 Depth=2
	s_wait_alu 0xfffe
	s_or_b32 exec_lo, exec_lo, s21
	s_delay_alu instid0(SALU_CYCLE_1)
	s_and_b32 s0, exec_lo, s20
	s_wait_alu 0xfffe
	s_or_b32 s7, s0, s7
	s_wait_alu 0xfffe
	s_and_not1_b32 exec_lo, exec_lo, s7
	s_cbranch_execz .LBB0_36
.LBB0_27:                               ;   Parent Loop BB0_11 Depth=1
                                        ; =>  This Inner Loop Header: Depth=2
	v_ashrrev_i32_e32 v7, 31, v6
	s_mov_b32 s20, exec_lo
	s_delay_alu instid0(VALU_DEP_1) | instskip(NEXT) | instid1(VALU_DEP_1)
	v_lshlrev_b64_e32 v[10:11], 2, v[6:7]
	v_add_co_u32 v10, vcc_lo, s14, v10
	s_wait_alu 0xfffd
	s_delay_alu instid0(VALU_DEP_2) | instskip(SKIP_3) | instid1(VALU_DEP_1)
	v_add_co_ci_u32_e64 v11, null, s15, v11, vcc_lo
	global_load_b32 v5, v[10:11], off
	s_wait_loadcnt 0x0
	v_subrev_nc_u32_e32 v5, s5, v5
	v_sub_nc_u32_e32 v7, v5, v23
	s_delay_alu instid0(VALU_DEP_1)
	v_cmp_gt_u32_e64 s0, 32, v7
	v_cmpx_lt_u32_e32 31, v7
	s_wait_alu 0xfffe
	s_xor_b32 s20, exec_lo, s20
; %bb.28:                               ;   in Loop: Header=BB0_27 Depth=2
	v_min_i32_e32 v32, v5, v32
                                        ; implicit-def: $vgpr7
; %bb.29:                               ;   in Loop: Header=BB0_27 Depth=2
	s_wait_alu 0xfffe
	s_and_not1_saveexec_b32 s20, s20
	s_cbranch_execz .LBB0_34
; %bb.30:                               ;   in Loop: Header=BB0_27 Depth=2
	v_lshlrev_b64_e32 v[10:11], 2, v[8:9]
	v_lshlrev_b32_e32 v5, 4, v7
	v_add_nc_u32_e32 v7, v15, v7
	s_mov_b32 s21, -1
	s_delay_alu instid0(VALU_DEP_2)
	v_add_nc_u32_e32 v5, v14, v5
	s_wait_kmcnt 0x0
	v_add_co_u32 v12, vcc_lo, s12, v10
	s_wait_alu 0xfffd
	v_add_co_ci_u32_e64 v13, null, s13, v11, vcc_lo
	ds_load_b64 v[10:11], v5
	s_and_not1_b32 vcc_lo, exec_lo, s1
	global_load_b32 v33, v[12:13], off
	s_wait_loadcnt_dscnt 0x0
	v_fma_f32 v10, s24, v33, v10
	ds_store_b8 v7, v29
	ds_store_b32 v5, v10
	s_wait_alu 0xfffe
	s_cbranch_vccnz .LBB0_32
; %bb.31:                               ;   in Loop: Header=BB0_27 Depth=2
	global_load_b96 v[33:35], v[12:13], off offset:4
	ds_load_b64 v[36:37], v5 offset:8
	s_mov_b32 s21, 0
	s_wait_loadcnt 0x0
	v_fma_f32 v7, s24, v34, v11
	s_wait_dscnt 0x0
	v_fma_f32 v10, s24, v33, v36
	v_fmac_f32_e32 v37, s24, v35
	ds_store_2addr_b32 v5, v7, v10 offset0:1 offset1:2
	ds_store_b32 v5, v37 offset:12
.LBB0_32:                               ;   in Loop: Header=BB0_27 Depth=2
	s_wait_alu 0xfffe
	s_and_not1_b32 vcc_lo, exec_lo, s21
	s_wait_alu 0xfffe
	s_cbranch_vccnz .LBB0_34
; %bb.33:                               ;   in Loop: Header=BB0_27 Depth=2
	global_load_b96 v[33:35], v[12:13], off offset:4
	ds_load_b64 v[12:13], v5 offset:8
	s_wait_loadcnt 0x0
	v_fmac_f32_e32 v11, s24, v33
	s_wait_dscnt 0x0
	v_fma_f32 v7, s24, v34, v12
	v_fmac_f32_e32 v13, s24, v35
	ds_store_2addr_b32 v5, v11, v7 offset0:1 offset1:2
	ds_store_b32 v5, v13 offset:12
.LBB0_34:                               ;   in Loop: Header=BB0_27 Depth=2
	s_wait_alu 0xfffe
	s_or_b32 exec_lo, exec_lo, s20
	s_mov_b32 s20, -1
	s_and_saveexec_b32 s21, s0
	s_cbranch_execz .LBB0_26
; %bb.35:                               ;   in Loop: Header=BB0_27 Depth=2
	v_add_nc_u32_e32 v6, 32, v6
	v_add_nc_u32_e32 v8, 0x80, v8
	s_delay_alu instid0(VALU_DEP_2)
	v_cmp_ge_i32_e32 vcc_lo, v6, v17
	s_or_not1_b32 s20, vcc_lo, exec_lo
	s_branch .LBB0_26
.LBB0_36:                               ;   in Loop: Header=BB0_11 Depth=1
	s_or_b32 exec_lo, exec_lo, s7
.LBB0_37:                               ;   in Loop: Header=BB0_11 Depth=1
	s_wait_alu 0xfffe
	s_or_b32 exec_lo, exec_lo, s6
	s_wait_loadcnt_dscnt 0x0
	global_inv scope:SCOPE_SE
	ds_load_u8 v5, v28
	s_mov_b32 s6, exec_lo
	s_wait_dscnt 0x0
	v_and_b32_e32 v7, 1, v5
	v_cmp_ne_u16_e32 vcc_lo, 0, v5
	s_delay_alu instid0(VALU_DEP_2)
	v_cmpx_eq_u32_e32 1, v7
	s_cbranch_execz .LBB0_10
; %bb.38:                               ;   in Loop: Header=BB0_11 Depth=1
	ds_load_2addr_b32 v[33:34], v19 offset1:3
	s_wait_alu 0xfffd
	v_and_b32_e32 v5, vcc_lo, v20
	ds_load_b32 v11, v30
	ds_load_b32 v12, v31
	s_wait_dscnt 0x2
	v_mov_b32_e32 v10, v33
	v_bcnt_u32_b32 v5, v5, 0
	v_mov_b32_e32 v13, v34
	s_delay_alu instid0(VALU_DEP_2) | instskip(SKIP_1) | instid1(VALU_DEP_2)
	v_add3_u32 v35, v18, v5, -1
	v_add_nc_u32_e32 v5, v21, v23
	v_ashrrev_i32_e32 v36, 31, v35
	v_lshlrev_b32_e32 v8, 2, v35
	s_delay_alu instid0(VALU_DEP_2) | instskip(NEXT) | instid1(VALU_DEP_2)
	v_lshlrev_b64_e32 v[35:36], 2, v[35:36]
	v_lshlrev_b64_e32 v[7:8], 2, v[8:9]
	s_wait_kmcnt 0x0
	s_delay_alu instid0(VALU_DEP_2) | instskip(SKIP_1) | instid1(VALU_DEP_3)
	v_add_co_u32 v33, s0, s16, v35
	s_wait_alu 0xf1ff
	v_add_co_ci_u32_e64 v34, null, s17, v36, s0
	s_delay_alu instid0(VALU_DEP_3)
	v_add_co_u32 v7, s0, s18, v7
	s_wait_alu 0xf1ff
	v_add_co_ci_u32_e64 v8, null, s19, v8, s0
	global_store_b32 v[33:34], v5, off
	s_wait_dscnt 0x0
	global_store_b128 v[7:8], v[10:13], off
	s_branch .LBB0_10
.LBB0_39:
	s_endpgm
	.section	.rodata,"a",@progbits
	.p2align	6, 0x0
	.amdhsa_kernel _ZN9rocsparseL39bsrgeam_wf_per_row_multipass_2_3_kernelILj256ELj2ELj32EfEEv20rocsparse_direction_iiiNS_24const_host_device_scalarIT2_EEPKiS6_PKS3_S4_S6_S6_S8_S6_PiPS3_21rocsparse_index_base_SB_SB_b
		.amdhsa_group_segment_fixed_size 4352
		.amdhsa_private_segment_fixed_size 0
		.amdhsa_kernarg_size 120
		.amdhsa_user_sgpr_count 2
		.amdhsa_user_sgpr_dispatch_ptr 0
		.amdhsa_user_sgpr_queue_ptr 0
		.amdhsa_user_sgpr_kernarg_segment_ptr 1
		.amdhsa_user_sgpr_dispatch_id 0
		.amdhsa_user_sgpr_private_segment_size 0
		.amdhsa_wavefront_size32 1
		.amdhsa_uses_dynamic_stack 0
		.amdhsa_enable_private_segment 0
		.amdhsa_system_sgpr_workgroup_id_x 1
		.amdhsa_system_sgpr_workgroup_id_y 0
		.amdhsa_system_sgpr_workgroup_id_z 0
		.amdhsa_system_sgpr_workgroup_info 0
		.amdhsa_system_vgpr_workitem_id 0
		.amdhsa_next_free_vgpr 38
		.amdhsa_next_free_sgpr 26
		.amdhsa_reserve_vcc 1
		.amdhsa_float_round_mode_32 0
		.amdhsa_float_round_mode_16_64 0
		.amdhsa_float_denorm_mode_32 3
		.amdhsa_float_denorm_mode_16_64 3
		.amdhsa_fp16_overflow 0
		.amdhsa_workgroup_processor_mode 1
		.amdhsa_memory_ordered 1
		.amdhsa_forward_progress 1
		.amdhsa_inst_pref_size 16
		.amdhsa_round_robin_scheduling 0
		.amdhsa_exception_fp_ieee_invalid_op 0
		.amdhsa_exception_fp_denorm_src 0
		.amdhsa_exception_fp_ieee_div_zero 0
		.amdhsa_exception_fp_ieee_overflow 0
		.amdhsa_exception_fp_ieee_underflow 0
		.amdhsa_exception_fp_ieee_inexact 0
		.amdhsa_exception_int_div_zero 0
	.end_amdhsa_kernel
	.section	.text._ZN9rocsparseL39bsrgeam_wf_per_row_multipass_2_3_kernelILj256ELj2ELj32EfEEv20rocsparse_direction_iiiNS_24const_host_device_scalarIT2_EEPKiS6_PKS3_S4_S6_S6_S8_S6_PiPS3_21rocsparse_index_base_SB_SB_b,"axG",@progbits,_ZN9rocsparseL39bsrgeam_wf_per_row_multipass_2_3_kernelILj256ELj2ELj32EfEEv20rocsparse_direction_iiiNS_24const_host_device_scalarIT2_EEPKiS6_PKS3_S4_S6_S6_S8_S6_PiPS3_21rocsparse_index_base_SB_SB_b,comdat
.Lfunc_end0:
	.size	_ZN9rocsparseL39bsrgeam_wf_per_row_multipass_2_3_kernelILj256ELj2ELj32EfEEv20rocsparse_direction_iiiNS_24const_host_device_scalarIT2_EEPKiS6_PKS3_S4_S6_S6_S8_S6_PiPS3_21rocsparse_index_base_SB_SB_b, .Lfunc_end0-_ZN9rocsparseL39bsrgeam_wf_per_row_multipass_2_3_kernelILj256ELj2ELj32EfEEv20rocsparse_direction_iiiNS_24const_host_device_scalarIT2_EEPKiS6_PKS3_S4_S6_S6_S8_S6_PiPS3_21rocsparse_index_base_SB_SB_b
                                        ; -- End function
	.set _ZN9rocsparseL39bsrgeam_wf_per_row_multipass_2_3_kernelILj256ELj2ELj32EfEEv20rocsparse_direction_iiiNS_24const_host_device_scalarIT2_EEPKiS6_PKS3_S4_S6_S6_S8_S6_PiPS3_21rocsparse_index_base_SB_SB_b.num_vgpr, 38
	.set _ZN9rocsparseL39bsrgeam_wf_per_row_multipass_2_3_kernelILj256ELj2ELj32EfEEv20rocsparse_direction_iiiNS_24const_host_device_scalarIT2_EEPKiS6_PKS3_S4_S6_S6_S8_S6_PiPS3_21rocsparse_index_base_SB_SB_b.num_agpr, 0
	.set _ZN9rocsparseL39bsrgeam_wf_per_row_multipass_2_3_kernelILj256ELj2ELj32EfEEv20rocsparse_direction_iiiNS_24const_host_device_scalarIT2_EEPKiS6_PKS3_S4_S6_S6_S8_S6_PiPS3_21rocsparse_index_base_SB_SB_b.numbered_sgpr, 26
	.set _ZN9rocsparseL39bsrgeam_wf_per_row_multipass_2_3_kernelILj256ELj2ELj32EfEEv20rocsparse_direction_iiiNS_24const_host_device_scalarIT2_EEPKiS6_PKS3_S4_S6_S6_S8_S6_PiPS3_21rocsparse_index_base_SB_SB_b.num_named_barrier, 0
	.set _ZN9rocsparseL39bsrgeam_wf_per_row_multipass_2_3_kernelILj256ELj2ELj32EfEEv20rocsparse_direction_iiiNS_24const_host_device_scalarIT2_EEPKiS6_PKS3_S4_S6_S6_S8_S6_PiPS3_21rocsparse_index_base_SB_SB_b.private_seg_size, 0
	.set _ZN9rocsparseL39bsrgeam_wf_per_row_multipass_2_3_kernelILj256ELj2ELj32EfEEv20rocsparse_direction_iiiNS_24const_host_device_scalarIT2_EEPKiS6_PKS3_S4_S6_S6_S8_S6_PiPS3_21rocsparse_index_base_SB_SB_b.uses_vcc, 1
	.set _ZN9rocsparseL39bsrgeam_wf_per_row_multipass_2_3_kernelILj256ELj2ELj32EfEEv20rocsparse_direction_iiiNS_24const_host_device_scalarIT2_EEPKiS6_PKS3_S4_S6_S6_S8_S6_PiPS3_21rocsparse_index_base_SB_SB_b.uses_flat_scratch, 0
	.set _ZN9rocsparseL39bsrgeam_wf_per_row_multipass_2_3_kernelILj256ELj2ELj32EfEEv20rocsparse_direction_iiiNS_24const_host_device_scalarIT2_EEPKiS6_PKS3_S4_S6_S6_S8_S6_PiPS3_21rocsparse_index_base_SB_SB_b.has_dyn_sized_stack, 0
	.set _ZN9rocsparseL39bsrgeam_wf_per_row_multipass_2_3_kernelILj256ELj2ELj32EfEEv20rocsparse_direction_iiiNS_24const_host_device_scalarIT2_EEPKiS6_PKS3_S4_S6_S6_S8_S6_PiPS3_21rocsparse_index_base_SB_SB_b.has_recursion, 0
	.set _ZN9rocsparseL39bsrgeam_wf_per_row_multipass_2_3_kernelILj256ELj2ELj32EfEEv20rocsparse_direction_iiiNS_24const_host_device_scalarIT2_EEPKiS6_PKS3_S4_S6_S6_S8_S6_PiPS3_21rocsparse_index_base_SB_SB_b.has_indirect_call, 0
	.section	.AMDGPU.csdata,"",@progbits
; Kernel info:
; codeLenInByte = 1996
; TotalNumSgprs: 28
; NumVgprs: 38
; ScratchSize: 0
; MemoryBound: 0
; FloatMode: 240
; IeeeMode: 1
; LDSByteSize: 4352 bytes/workgroup (compile time only)
; SGPRBlocks: 0
; VGPRBlocks: 4
; NumSGPRsForWavesPerEU: 28
; NumVGPRsForWavesPerEU: 38
; Occupancy: 16
; WaveLimiterHint : 1
; COMPUTE_PGM_RSRC2:SCRATCH_EN: 0
; COMPUTE_PGM_RSRC2:USER_SGPR: 2
; COMPUTE_PGM_RSRC2:TRAP_HANDLER: 0
; COMPUTE_PGM_RSRC2:TGID_X_EN: 1
; COMPUTE_PGM_RSRC2:TGID_Y_EN: 0
; COMPUTE_PGM_RSRC2:TGID_Z_EN: 0
; COMPUTE_PGM_RSRC2:TIDIG_COMP_CNT: 0
	.section	.text._ZN9rocsparseL39bsrgeam_wf_per_row_multipass_2_3_kernelILj256ELj2ELj64EfEEv20rocsparse_direction_iiiNS_24const_host_device_scalarIT2_EEPKiS6_PKS3_S4_S6_S6_S8_S6_PiPS3_21rocsparse_index_base_SB_SB_b,"axG",@progbits,_ZN9rocsparseL39bsrgeam_wf_per_row_multipass_2_3_kernelILj256ELj2ELj64EfEEv20rocsparse_direction_iiiNS_24const_host_device_scalarIT2_EEPKiS6_PKS3_S4_S6_S6_S8_S6_PiPS3_21rocsparse_index_base_SB_SB_b,comdat
	.globl	_ZN9rocsparseL39bsrgeam_wf_per_row_multipass_2_3_kernelILj256ELj2ELj64EfEEv20rocsparse_direction_iiiNS_24const_host_device_scalarIT2_EEPKiS6_PKS3_S4_S6_S6_S8_S6_PiPS3_21rocsparse_index_base_SB_SB_b ; -- Begin function _ZN9rocsparseL39bsrgeam_wf_per_row_multipass_2_3_kernelILj256ELj2ELj64EfEEv20rocsparse_direction_iiiNS_24const_host_device_scalarIT2_EEPKiS6_PKS3_S4_S6_S6_S8_S6_PiPS3_21rocsparse_index_base_SB_SB_b
	.p2align	8
	.type	_ZN9rocsparseL39bsrgeam_wf_per_row_multipass_2_3_kernelILj256ELj2ELj64EfEEv20rocsparse_direction_iiiNS_24const_host_device_scalarIT2_EEPKiS6_PKS3_S4_S6_S6_S8_S6_PiPS3_21rocsparse_index_base_SB_SB_b,@function
_ZN9rocsparseL39bsrgeam_wf_per_row_multipass_2_3_kernelILj256ELj2ELj64EfEEv20rocsparse_direction_iiiNS_24const_host_device_scalarIT2_EEPKiS6_PKS3_S4_S6_S6_S8_S6_PiPS3_21rocsparse_index_base_SB_SB_b: ; @_ZN9rocsparseL39bsrgeam_wf_per_row_multipass_2_3_kernelILj256ELj2ELj64EfEEv20rocsparse_direction_iiiNS_24const_host_device_scalarIT2_EEPKiS6_PKS3_S4_S6_S6_S8_S6_PiPS3_21rocsparse_index_base_SB_SB_b
; %bb.0:
	s_clause 0x2
	s_load_b128 s[4:7], s[0:1], 0x68
	s_load_b64 s[2:3], s[0:1], 0x10
	s_load_b64 s[24:25], s[0:1], 0x30
	s_wait_kmcnt 0x0
	s_bitcmp1_b32 s7, 0
	s_cselect_b32 s7, -1, 0
	s_delay_alu instid0(SALU_CYCLE_1)
	s_and_b32 vcc_lo, exec_lo, s7
	s_xor_b32 s7, s7, -1
	s_cbranch_vccnz .LBB1_2
; %bb.1:
	s_load_b32 s2, s[2:3], 0x0
.LBB1_2:
	s_and_not1_b32 vcc_lo, exec_lo, s7
	s_cbranch_vccnz .LBB1_4
; %bb.3:
	s_load_b32 s24, s[24:25], 0x0
.LBB1_4:
	s_load_b96 s[20:22], s[0:1], 0x0
	v_lshrrev_b32_e32 v7, 6, v0
	s_lshl_b32 s3, ttmp9, 2
	s_delay_alu instid0(VALU_DEP_1) | instid1(SALU_CYCLE_1)
	v_and_or_b32 v1, 0x3fffffc, s3, v7
	s_mov_b32 s3, exec_lo
	s_wait_kmcnt 0x0
	s_delay_alu instid0(VALU_DEP_1)
	v_cmpx_gt_i32_e64 s21, v1
	s_cbranch_execz .LBB1_39
; %bb.5:
	s_clause 0x2
	s_load_b128 s[8:11], s[0:1], 0x18
	s_load_b128 s[12:15], s[0:1], 0x38
	s_load_b64 s[16:17], s[0:1], 0x50
	v_lshlrev_b32_e32 v1, 2, v1
	s_wait_kmcnt 0x0
	s_clause 0x2
	global_load_b64 v[5:6], v1, s[8:9]
	global_load_b64 v[3:4], v1, s[12:13]
	global_load_b32 v8, v1, s[16:17]
	s_wait_loadcnt 0x2
	v_subrev_nc_u32_e32 v1, s4, v5
	v_cmp_lt_i32_e32 vcc_lo, v5, v6
	v_mov_b32_e32 v5, s22
	s_and_saveexec_b32 s3, vcc_lo
	s_cbranch_execz .LBB1_7
; %bb.6:
	v_ashrrev_i32_e32 v2, 31, v1
	s_delay_alu instid0(VALU_DEP_1) | instskip(NEXT) | instid1(VALU_DEP_1)
	v_lshlrev_b64_e32 v[9:10], 2, v[1:2]
	v_add_co_u32 v9, vcc_lo, s10, v9
	s_delay_alu instid0(VALU_DEP_1)
	v_add_co_ci_u32_e64 v10, null, s11, v10, vcc_lo
	global_load_b32 v2, v[9:10], off
	s_wait_loadcnt 0x0
	v_subrev_nc_u32_e32 v5, s4, v2
.LBB1_7:
	s_wait_alu 0xfffe
	s_or_b32 exec_lo, exec_lo, s3
	s_clause 0x2
	s_load_b128 s[16:19], s[0:1], 0x58
	s_load_b64 s[8:9], s[0:1], 0x28
	s_load_b64 s[12:13], s[0:1], 0x48
	s_wait_loadcnt 0x1
	v_subrev_nc_u32_e32 v2, s5, v3
	v_cmp_lt_i32_e32 vcc_lo, v3, v4
	v_mov_b32_e32 v3, s22
	s_and_saveexec_b32 s0, vcc_lo
	s_cbranch_execz .LBB1_9
; %bb.8:
	v_ashrrev_i32_e32 v3, 31, v2
	s_delay_alu instid0(VALU_DEP_1) | instskip(NEXT) | instid1(VALU_DEP_1)
	v_lshlrev_b64_e32 v[9:10], 2, v[2:3]
	v_add_co_u32 v9, vcc_lo, s14, v9
	s_wait_alu 0xfffd
	s_delay_alu instid0(VALU_DEP_2)
	v_add_co_ci_u32_e64 v10, null, s15, v10, vcc_lo
	global_load_b32 v3, v[9:10], off
	s_wait_loadcnt 0x0
	v_subrev_nc_u32_e32 v3, s5, v3
.LBB1_9:
	s_or_b32 exec_lo, exec_lo, s0
	s_movk_i32 s0, 0xc0
	s_delay_alu instid0(VALU_DEP_1)
	v_min_i32_e32 v22, v3, v5
	v_and_or_b32 v16, v0, s0, 0x1000
	v_mbcnt_lo_u32_b32 v3, -1, 0
	v_and_b32_e32 v0, 63, v0
	v_subrev_nc_u32_e32 v18, s5, v4
	v_subrev_nc_u32_e32 v17, s4, v6
	s_wait_loadcnt 0x0
	v_subrev_nc_u32_e32 v19, s6, v8
	s_cmp_lg_u32 s20, 0
	v_add_nc_u32_e32 v4, v1, v0
	v_or_b32_e32 v1, 32, v3
	s_cselect_b32 s1, -1, 0
	s_cmp_eq_u32 s20, 0
	v_mov_b32_e32 v30, 1
	s_cselect_b32 s0, 4, 8
	v_cmp_gt_i32_e32 vcc_lo, 32, v1
	s_cselect_b32 s3, 8, 4
	s_wait_alu 0xfffd
	v_dual_mov_b32 v10, 0 :: v_dual_cndmask_b32 v1, v3, v1
	v_xor_b32_e32 v5, 63, v0
	v_add_nc_u32_e32 v29, v16, v0
	s_delay_alu instid0(VALU_DEP_3)
	v_lshlrev_b32_e32 v23, 2, v1
	v_xor_b32_e32 v1, 4, v3
	v_add_nc_u32_e32 v6, v2, v0
	v_xor_b32_e32 v2, 16, v3
	v_lshrrev_b64 v[8:9], v5, -1
	v_xor_b32_e32 v5, 8, v3
	s_delay_alu instid0(VALU_DEP_3)
	v_cmp_gt_i32_e32 vcc_lo, 32, v2
	v_lshlrev_b32_e32 v15, 10, v7
	v_xor_b32_e32 v7, 1, v3
	s_wait_alu 0xfffd
	v_cndmask_b32_e32 v2, v3, v2, vcc_lo
	v_cmp_gt_i32_e32 vcc_lo, 32, v5
	v_lshl_or_b32 v20, v0, 4, v15
	s_delay_alu instid0(VALU_DEP_3)
	v_lshlrev_b32_e32 v24, 2, v2
	v_xor_b32_e32 v2, 2, v3
	s_wait_alu 0xfffd
	v_cndmask_b32_e32 v5, v3, v5, vcc_lo
	v_cmp_gt_i32_e32 vcc_lo, 32, v1
	s_wait_alu 0xfffe
	v_add_nc_u32_e32 v31, s0, v20
	v_add_nc_u32_e32 v32, s3, v20
	s_mov_b32 s3, 0
	v_lshlrev_b32_e32 v25, 2, v5
	s_wait_alu 0xfffd
	v_cndmask_b32_e32 v1, v3, v1, vcc_lo
	v_cmp_gt_i32_e32 vcc_lo, 32, v2
	v_dual_mov_b32 v0, v10 :: v_dual_add_nc_u32 v21, s6, v0
	s_delay_alu instid0(VALU_DEP_3) | instskip(SKIP_3) | instid1(VALU_DEP_2)
	v_dual_mov_b32 v1, v10 :: v_dual_lshlrev_b32 v26, 2, v1
	s_wait_alu 0xfffd
	v_cndmask_b32_e32 v2, v3, v2, vcc_lo
	v_cmp_gt_i32_e32 vcc_lo, 32, v7
	v_dual_mov_b32 v2, v10 :: v_dual_lshlrev_b32 v27, 2, v2
	s_wait_alu 0xfffd
	v_cndmask_b32_e32 v3, v3, v7, vcc_lo
	s_delay_alu instid0(VALU_DEP_1)
	v_dual_mov_b32 v3, v10 :: v_dual_lshlrev_b32 v28, 2, v3
	s_branch .LBB1_11
.LBB1_10:                               ;   in Loop: Header=BB1_11 Depth=1
	s_wait_alu 0xfffe
	s_or_b32 exec_lo, exec_lo, s6
	ds_bpermute_b32 v5, v23, v33
	s_bcnt1_i32_b32 s6, vcc_lo
	s_wait_alu 0xfffe
	v_add_nc_u32_e32 v19, s6, v19
	s_wait_dscnt 0x0
	v_min_i32_e32 v5, v5, v33
	ds_bpermute_b32 v7, v24, v5
	s_wait_dscnt 0x0
	v_min_i32_e32 v5, v7, v5
	ds_bpermute_b32 v7, v25, v5
	;; [unrolled: 3-line block ×5, first 2 shown]
	s_wait_dscnt 0x0
	v_min_i32_e32 v22, v7, v5
	s_delay_alu instid0(VALU_DEP_1)
	v_cmp_le_i32_e64 s0, s22, v22
	s_or_b32 s3, s0, s3
	s_wait_alu 0xfffe
	s_and_not1_b32 exec_lo, exec_lo, s3
	s_cbranch_execz .LBB1_39
.LBB1_11:                               ; =>This Loop Header: Depth=1
                                        ;     Child Loop BB1_14 Depth 2
                                        ;     Child Loop BB1_27 Depth 2
	v_mov_b32_e32 v33, s22
	s_mov_b32 s6, exec_lo
	ds_store_b8 v29, v10
	ds_store_b128 v20, v[0:3]
	s_wait_dscnt 0x0
	global_inv scope:SCOPE_SE
	v_cmpx_lt_i32_e64 v4, v17
	s_cbranch_execz .LBB1_24
; %bb.12:                               ;   in Loop: Header=BB1_11 Depth=1
	v_lshlrev_b32_e32 v9, 2, v4
	v_mov_b32_e32 v33, s22
	s_mov_b32 s7, 0
	s_branch .LBB1_14
.LBB1_13:                               ;   in Loop: Header=BB1_14 Depth=2
	s_wait_alu 0xfffe
	s_or_b32 exec_lo, exec_lo, s21
	s_delay_alu instid0(SALU_CYCLE_1)
	s_and_b32 s0, exec_lo, s20
	s_wait_alu 0xfffe
	s_or_b32 s7, s0, s7
	s_wait_alu 0xfffe
	s_and_not1_b32 exec_lo, exec_lo, s7
	s_cbranch_execz .LBB1_23
.LBB1_14:                               ;   Parent Loop BB1_11 Depth=1
                                        ; =>  This Inner Loop Header: Depth=2
	v_ashrrev_i32_e32 v5, 31, v4
	s_mov_b32 s20, exec_lo
	s_delay_alu instid0(VALU_DEP_1) | instskip(NEXT) | instid1(VALU_DEP_1)
	v_lshlrev_b64_e32 v[11:12], 2, v[4:5]
	v_add_co_u32 v11, vcc_lo, s10, v11
	s_wait_alu 0xfffd
	s_delay_alu instid0(VALU_DEP_2) | instskip(SKIP_3) | instid1(VALU_DEP_1)
	v_add_co_ci_u32_e64 v12, null, s11, v12, vcc_lo
	global_load_b32 v5, v[11:12], off
	s_wait_loadcnt 0x0
	v_subrev_nc_u32_e32 v7, s4, v5
	v_sub_nc_u32_e32 v5, v7, v22
	s_delay_alu instid0(VALU_DEP_1)
	v_cmp_gt_u32_e64 s0, 64, v5
	v_cmpx_lt_u32_e32 63, v5
	s_wait_alu 0xfffe
	s_xor_b32 s20, exec_lo, s20
; %bb.15:                               ;   in Loop: Header=BB1_14 Depth=2
	v_min_i32_e32 v33, v7, v33
                                        ; implicit-def: $vgpr5
; %bb.16:                               ;   in Loop: Header=BB1_14 Depth=2
	s_wait_alu 0xfffe
	s_and_not1_saveexec_b32 s20, s20
	s_cbranch_execz .LBB1_21
; %bb.17:                               ;   in Loop: Header=BB1_14 Depth=2
	v_lshlrev_b64_e32 v[11:12], 2, v[9:10]
	v_lshlrev_b32_e32 v13, 4, v5
	s_mov_b32 s21, -1
	s_wait_kmcnt 0x0
	s_delay_alu instid0(VALU_DEP_2)
	v_add_co_u32 v11, vcc_lo, s8, v11
	s_wait_alu 0xfffd
	v_add_co_ci_u32_e64 v12, null, s9, v12, vcc_lo
	s_and_not1_b32 vcc_lo, exec_lo, s1
	global_load_b32 v7, v[11:12], off
	v_add_nc_u32_e32 v14, v16, v5
	v_add_nc_u32_e32 v5, v15, v13
	s_wait_loadcnt 0x0
	v_mul_f32_e32 v7, s2, v7
	ds_store_b8 v14, v30
	ds_store_b32 v5, v7
	s_wait_alu 0xfffe
	s_cbranch_vccnz .LBB1_19
; %bb.18:                               ;   in Loop: Header=BB1_14 Depth=2
	global_load_b96 v[34:36], v[11:12], off offset:4
	s_mov_b32 s21, 0
	s_wait_loadcnt 0x0
	v_dual_mul_f32 v7, s2, v35 :: v_dual_mul_f32 v14, s2, v36
	v_mul_f32_e32 v13, s2, v34
	ds_store_2addr_b32 v5, v7, v13 offset0:1 offset1:2
	ds_store_b32 v5, v14 offset:12
.LBB1_19:                               ;   in Loop: Header=BB1_14 Depth=2
	s_wait_alu 0xfffe
	s_and_not1_b32 vcc_lo, exec_lo, s21
	s_wait_alu 0xfffe
	s_cbranch_vccnz .LBB1_21
; %bb.20:                               ;   in Loop: Header=BB1_14 Depth=2
	global_load_b96 v[11:13], v[11:12], off offset:4
	s_wait_loadcnt 0x0
	v_mul_f32_e32 v7, s2, v11
	v_dual_mul_f32 v11, s2, v12 :: v_dual_mul_f32 v12, s2, v13
	ds_store_2addr_b32 v5, v7, v11 offset0:1 offset1:2
	ds_store_b32 v5, v12 offset:12
.LBB1_21:                               ;   in Loop: Header=BB1_14 Depth=2
	s_wait_alu 0xfffe
	s_or_b32 exec_lo, exec_lo, s20
	s_mov_b32 s20, -1
	s_and_saveexec_b32 s21, s0
	s_cbranch_execz .LBB1_13
; %bb.22:                               ;   in Loop: Header=BB1_14 Depth=2
	v_add_nc_u32_e32 v4, 64, v4
	v_add_nc_u32_e32 v9, 0x100, v9
	s_delay_alu instid0(VALU_DEP_2)
	v_cmp_ge_i32_e32 vcc_lo, v4, v17
	s_or_not1_b32 s20, vcc_lo, exec_lo
	s_branch .LBB1_13
.LBB1_23:                               ;   in Loop: Header=BB1_11 Depth=1
	s_or_b32 exec_lo, exec_lo, s7
.LBB1_24:                               ;   in Loop: Header=BB1_11 Depth=1
	s_wait_alu 0xfffe
	s_or_b32 exec_lo, exec_lo, s6
	s_delay_alu instid0(SALU_CYCLE_1)
	s_mov_b32 s6, exec_lo
	s_wait_loadcnt_dscnt 0x0
	global_inv scope:SCOPE_SE
	v_cmpx_lt_i32_e64 v6, v18
	s_cbranch_execz .LBB1_37
; %bb.25:                               ;   in Loop: Header=BB1_11 Depth=1
	v_lshlrev_b32_e32 v9, 2, v6
	s_mov_b32 s7, 0
	s_branch .LBB1_27
.LBB1_26:                               ;   in Loop: Header=BB1_27 Depth=2
	s_wait_alu 0xfffe
	s_or_b32 exec_lo, exec_lo, s21
	s_delay_alu instid0(SALU_CYCLE_1)
	s_and_b32 s0, exec_lo, s20
	s_wait_alu 0xfffe
	s_or_b32 s7, s0, s7
	s_wait_alu 0xfffe
	s_and_not1_b32 exec_lo, exec_lo, s7
	s_cbranch_execz .LBB1_36
.LBB1_27:                               ;   Parent Loop BB1_11 Depth=1
                                        ; =>  This Inner Loop Header: Depth=2
	v_ashrrev_i32_e32 v7, 31, v6
	s_mov_b32 s20, exec_lo
	s_delay_alu instid0(VALU_DEP_1) | instskip(NEXT) | instid1(VALU_DEP_1)
	v_lshlrev_b64_e32 v[11:12], 2, v[6:7]
	v_add_co_u32 v11, vcc_lo, s14, v11
	s_wait_alu 0xfffd
	s_delay_alu instid0(VALU_DEP_2) | instskip(SKIP_3) | instid1(VALU_DEP_1)
	v_add_co_ci_u32_e64 v12, null, s15, v12, vcc_lo
	global_load_b32 v5, v[11:12], off
	s_wait_loadcnt 0x0
	v_subrev_nc_u32_e32 v5, s5, v5
	v_sub_nc_u32_e32 v7, v5, v22
	s_delay_alu instid0(VALU_DEP_1)
	v_cmp_gt_u32_e64 s0, 64, v7
	v_cmpx_lt_u32_e32 63, v7
	s_wait_alu 0xfffe
	s_xor_b32 s20, exec_lo, s20
; %bb.28:                               ;   in Loop: Header=BB1_27 Depth=2
	v_min_i32_e32 v33, v5, v33
                                        ; implicit-def: $vgpr7
; %bb.29:                               ;   in Loop: Header=BB1_27 Depth=2
	s_wait_alu 0xfffe
	s_and_not1_saveexec_b32 s20, s20
	s_cbranch_execz .LBB1_34
; %bb.30:                               ;   in Loop: Header=BB1_27 Depth=2
	v_lshlrev_b64_e32 v[11:12], 2, v[9:10]
	v_lshlrev_b32_e32 v5, 4, v7
	v_add_nc_u32_e32 v7, v16, v7
	s_mov_b32 s21, -1
	s_delay_alu instid0(VALU_DEP_2)
	v_add_nc_u32_e32 v5, v15, v5
	s_wait_kmcnt 0x0
	v_add_co_u32 v13, vcc_lo, s12, v11
	s_wait_alu 0xfffd
	v_add_co_ci_u32_e64 v14, null, s13, v12, vcc_lo
	ds_load_b64 v[11:12], v5
	s_and_not1_b32 vcc_lo, exec_lo, s1
	global_load_b32 v34, v[13:14], off
	s_wait_loadcnt_dscnt 0x0
	v_fma_f32 v11, s24, v34, v11
	ds_store_b8 v7, v30
	ds_store_b32 v5, v11
	s_wait_alu 0xfffe
	s_cbranch_vccnz .LBB1_32
; %bb.31:                               ;   in Loop: Header=BB1_27 Depth=2
	global_load_b96 v[34:36], v[13:14], off offset:4
	ds_load_b64 v[37:38], v5 offset:8
	s_mov_b32 s21, 0
	s_wait_loadcnt 0x0
	v_fma_f32 v7, s24, v35, v12
	s_wait_dscnt 0x0
	v_fma_f32 v11, s24, v34, v37
	v_fmac_f32_e32 v38, s24, v36
	ds_store_2addr_b32 v5, v7, v11 offset0:1 offset1:2
	ds_store_b32 v5, v38 offset:12
.LBB1_32:                               ;   in Loop: Header=BB1_27 Depth=2
	s_wait_alu 0xfffe
	s_and_not1_b32 vcc_lo, exec_lo, s21
	s_wait_alu 0xfffe
	s_cbranch_vccnz .LBB1_34
; %bb.33:                               ;   in Loop: Header=BB1_27 Depth=2
	global_load_b96 v[34:36], v[13:14], off offset:4
	ds_load_b64 v[13:14], v5 offset:8
	s_wait_loadcnt 0x0
	v_fmac_f32_e32 v12, s24, v34
	s_wait_dscnt 0x0
	v_fma_f32 v7, s24, v35, v13
	v_fmac_f32_e32 v14, s24, v36
	ds_store_2addr_b32 v5, v12, v7 offset0:1 offset1:2
	ds_store_b32 v5, v14 offset:12
.LBB1_34:                               ;   in Loop: Header=BB1_27 Depth=2
	s_wait_alu 0xfffe
	s_or_b32 exec_lo, exec_lo, s20
	s_mov_b32 s20, -1
	s_and_saveexec_b32 s21, s0
	s_cbranch_execz .LBB1_26
; %bb.35:                               ;   in Loop: Header=BB1_27 Depth=2
	v_add_nc_u32_e32 v6, 64, v6
	v_add_nc_u32_e32 v9, 0x100, v9
	s_delay_alu instid0(VALU_DEP_2)
	v_cmp_ge_i32_e32 vcc_lo, v6, v18
	s_or_not1_b32 s20, vcc_lo, exec_lo
	s_branch .LBB1_26
.LBB1_36:                               ;   in Loop: Header=BB1_11 Depth=1
	s_or_b32 exec_lo, exec_lo, s7
.LBB1_37:                               ;   in Loop: Header=BB1_11 Depth=1
	s_wait_alu 0xfffe
	s_or_b32 exec_lo, exec_lo, s6
	s_wait_loadcnt_dscnt 0x0
	global_inv scope:SCOPE_SE
	ds_load_u8 v5, v29
	s_mov_b32 s6, exec_lo
	s_wait_dscnt 0x0
	v_and_b32_e32 v7, 1, v5
	v_cmp_ne_u16_e32 vcc_lo, 0, v5
	s_delay_alu instid0(VALU_DEP_2)
	v_cmpx_eq_u32_e32 1, v7
	s_cbranch_execz .LBB1_10
; %bb.38:                               ;   in Loop: Header=BB1_11 Depth=1
	ds_load_2addr_b32 v[34:35], v20 offset1:3
	s_wait_alu 0xfffd
	v_and_b32_e32 v5, vcc_lo, v8
	ds_load_b32 v12, v31
	ds_load_b32 v13, v32
	s_wait_dscnt 0x2
	v_mov_b32_e32 v14, v35
	v_bcnt_u32_b32 v5, v5, 0
	v_mov_b32_e32 v11, v34
	s_delay_alu instid0(VALU_DEP_2) | instskip(SKIP_1) | instid1(VALU_DEP_2)
	v_add3_u32 v36, v19, v5, -1
	v_add_nc_u32_e32 v5, v21, v22
	v_ashrrev_i32_e32 v37, 31, v36
	v_lshlrev_b32_e32 v9, 2, v36
	s_delay_alu instid0(VALU_DEP_2) | instskip(NEXT) | instid1(VALU_DEP_2)
	v_lshlrev_b64_e32 v[36:37], 2, v[36:37]
	v_lshlrev_b64_e32 v[38:39], 2, v[9:10]
	s_wait_kmcnt 0x0
	s_delay_alu instid0(VALU_DEP_2) | instskip(SKIP_1) | instid1(VALU_DEP_3)
	v_add_co_u32 v34, s0, s16, v36
	s_wait_alu 0xf1ff
	v_add_co_ci_u32_e64 v35, null, s17, v37, s0
	s_delay_alu instid0(VALU_DEP_3)
	v_add_co_u32 v36, s0, s18, v38
	s_wait_alu 0xf1ff
	v_add_co_ci_u32_e64 v37, null, s19, v39, s0
	global_store_b32 v[34:35], v5, off
	s_wait_dscnt 0x0
	global_store_b128 v[36:37], v[11:14], off
	s_branch .LBB1_10
.LBB1_39:
	s_endpgm
	.section	.rodata,"a",@progbits
	.p2align	6, 0x0
	.amdhsa_kernel _ZN9rocsparseL39bsrgeam_wf_per_row_multipass_2_3_kernelILj256ELj2ELj64EfEEv20rocsparse_direction_iiiNS_24const_host_device_scalarIT2_EEPKiS6_PKS3_S4_S6_S6_S8_S6_PiPS3_21rocsparse_index_base_SB_SB_b
		.amdhsa_group_segment_fixed_size 4352
		.amdhsa_private_segment_fixed_size 0
		.amdhsa_kernarg_size 120
		.amdhsa_user_sgpr_count 2
		.amdhsa_user_sgpr_dispatch_ptr 0
		.amdhsa_user_sgpr_queue_ptr 0
		.amdhsa_user_sgpr_kernarg_segment_ptr 1
		.amdhsa_user_sgpr_dispatch_id 0
		.amdhsa_user_sgpr_private_segment_size 0
		.amdhsa_wavefront_size32 1
		.amdhsa_uses_dynamic_stack 0
		.amdhsa_enable_private_segment 0
		.amdhsa_system_sgpr_workgroup_id_x 1
		.amdhsa_system_sgpr_workgroup_id_y 0
		.amdhsa_system_sgpr_workgroup_id_z 0
		.amdhsa_system_sgpr_workgroup_info 0
		.amdhsa_system_vgpr_workitem_id 0
		.amdhsa_next_free_vgpr 40
		.amdhsa_next_free_sgpr 26
		.amdhsa_reserve_vcc 1
		.amdhsa_float_round_mode_32 0
		.amdhsa_float_round_mode_16_64 0
		.amdhsa_float_denorm_mode_32 3
		.amdhsa_float_denorm_mode_16_64 3
		.amdhsa_fp16_overflow 0
		.amdhsa_workgroup_processor_mode 1
		.amdhsa_memory_ordered 1
		.amdhsa_forward_progress 1
		.amdhsa_inst_pref_size 16
		.amdhsa_round_robin_scheduling 0
		.amdhsa_exception_fp_ieee_invalid_op 0
		.amdhsa_exception_fp_denorm_src 0
		.amdhsa_exception_fp_ieee_div_zero 0
		.amdhsa_exception_fp_ieee_overflow 0
		.amdhsa_exception_fp_ieee_underflow 0
		.amdhsa_exception_fp_ieee_inexact 0
		.amdhsa_exception_int_div_zero 0
	.end_amdhsa_kernel
	.section	.text._ZN9rocsparseL39bsrgeam_wf_per_row_multipass_2_3_kernelILj256ELj2ELj64EfEEv20rocsparse_direction_iiiNS_24const_host_device_scalarIT2_EEPKiS6_PKS3_S4_S6_S6_S8_S6_PiPS3_21rocsparse_index_base_SB_SB_b,"axG",@progbits,_ZN9rocsparseL39bsrgeam_wf_per_row_multipass_2_3_kernelILj256ELj2ELj64EfEEv20rocsparse_direction_iiiNS_24const_host_device_scalarIT2_EEPKiS6_PKS3_S4_S6_S6_S8_S6_PiPS3_21rocsparse_index_base_SB_SB_b,comdat
.Lfunc_end1:
	.size	_ZN9rocsparseL39bsrgeam_wf_per_row_multipass_2_3_kernelILj256ELj2ELj64EfEEv20rocsparse_direction_iiiNS_24const_host_device_scalarIT2_EEPKiS6_PKS3_S4_S6_S6_S8_S6_PiPS3_21rocsparse_index_base_SB_SB_b, .Lfunc_end1-_ZN9rocsparseL39bsrgeam_wf_per_row_multipass_2_3_kernelILj256ELj2ELj64EfEEv20rocsparse_direction_iiiNS_24const_host_device_scalarIT2_EEPKiS6_PKS3_S4_S6_S6_S8_S6_PiPS3_21rocsparse_index_base_SB_SB_b
                                        ; -- End function
	.set _ZN9rocsparseL39bsrgeam_wf_per_row_multipass_2_3_kernelILj256ELj2ELj64EfEEv20rocsparse_direction_iiiNS_24const_host_device_scalarIT2_EEPKiS6_PKS3_S4_S6_S6_S8_S6_PiPS3_21rocsparse_index_base_SB_SB_b.num_vgpr, 40
	.set _ZN9rocsparseL39bsrgeam_wf_per_row_multipass_2_3_kernelILj256ELj2ELj64EfEEv20rocsparse_direction_iiiNS_24const_host_device_scalarIT2_EEPKiS6_PKS3_S4_S6_S6_S8_S6_PiPS3_21rocsparse_index_base_SB_SB_b.num_agpr, 0
	.set _ZN9rocsparseL39bsrgeam_wf_per_row_multipass_2_3_kernelILj256ELj2ELj64EfEEv20rocsparse_direction_iiiNS_24const_host_device_scalarIT2_EEPKiS6_PKS3_S4_S6_S6_S8_S6_PiPS3_21rocsparse_index_base_SB_SB_b.numbered_sgpr, 26
	.set _ZN9rocsparseL39bsrgeam_wf_per_row_multipass_2_3_kernelILj256ELj2ELj64EfEEv20rocsparse_direction_iiiNS_24const_host_device_scalarIT2_EEPKiS6_PKS3_S4_S6_S6_S8_S6_PiPS3_21rocsparse_index_base_SB_SB_b.num_named_barrier, 0
	.set _ZN9rocsparseL39bsrgeam_wf_per_row_multipass_2_3_kernelILj256ELj2ELj64EfEEv20rocsparse_direction_iiiNS_24const_host_device_scalarIT2_EEPKiS6_PKS3_S4_S6_S6_S8_S6_PiPS3_21rocsparse_index_base_SB_SB_b.private_seg_size, 0
	.set _ZN9rocsparseL39bsrgeam_wf_per_row_multipass_2_3_kernelILj256ELj2ELj64EfEEv20rocsparse_direction_iiiNS_24const_host_device_scalarIT2_EEPKiS6_PKS3_S4_S6_S6_S8_S6_PiPS3_21rocsparse_index_base_SB_SB_b.uses_vcc, 1
	.set _ZN9rocsparseL39bsrgeam_wf_per_row_multipass_2_3_kernelILj256ELj2ELj64EfEEv20rocsparse_direction_iiiNS_24const_host_device_scalarIT2_EEPKiS6_PKS3_S4_S6_S6_S8_S6_PiPS3_21rocsparse_index_base_SB_SB_b.uses_flat_scratch, 0
	.set _ZN9rocsparseL39bsrgeam_wf_per_row_multipass_2_3_kernelILj256ELj2ELj64EfEEv20rocsparse_direction_iiiNS_24const_host_device_scalarIT2_EEPKiS6_PKS3_S4_S6_S6_S8_S6_PiPS3_21rocsparse_index_base_SB_SB_b.has_dyn_sized_stack, 0
	.set _ZN9rocsparseL39bsrgeam_wf_per_row_multipass_2_3_kernelILj256ELj2ELj64EfEEv20rocsparse_direction_iiiNS_24const_host_device_scalarIT2_EEPKiS6_PKS3_S4_S6_S6_S8_S6_PiPS3_21rocsparse_index_base_SB_SB_b.has_recursion, 0
	.set _ZN9rocsparseL39bsrgeam_wf_per_row_multipass_2_3_kernelILj256ELj2ELj64EfEEv20rocsparse_direction_iiiNS_24const_host_device_scalarIT2_EEPKiS6_PKS3_S4_S6_S6_S8_S6_PiPS3_21rocsparse_index_base_SB_SB_b.has_indirect_call, 0
	.section	.AMDGPU.csdata,"",@progbits
; Kernel info:
; codeLenInByte = 2048
; TotalNumSgprs: 28
; NumVgprs: 40
; ScratchSize: 0
; MemoryBound: 0
; FloatMode: 240
; IeeeMode: 1
; LDSByteSize: 4352 bytes/workgroup (compile time only)
; SGPRBlocks: 0
; VGPRBlocks: 4
; NumSGPRsForWavesPerEU: 28
; NumVGPRsForWavesPerEU: 40
; Occupancy: 16
; WaveLimiterHint : 1
; COMPUTE_PGM_RSRC2:SCRATCH_EN: 0
; COMPUTE_PGM_RSRC2:USER_SGPR: 2
; COMPUTE_PGM_RSRC2:TRAP_HANDLER: 0
; COMPUTE_PGM_RSRC2:TGID_X_EN: 1
; COMPUTE_PGM_RSRC2:TGID_Y_EN: 0
; COMPUTE_PGM_RSRC2:TGID_Z_EN: 0
; COMPUTE_PGM_RSRC2:TIDIG_COMP_CNT: 0
	.section	.text._ZN9rocsparseL39bsrgeam_wf_per_row_multipass_2_3_kernelILj256ELj3ELj32EfEEv20rocsparse_direction_iiiNS_24const_host_device_scalarIT2_EEPKiS6_PKS3_S4_S6_S6_S8_S6_PiPS3_21rocsparse_index_base_SB_SB_b,"axG",@progbits,_ZN9rocsparseL39bsrgeam_wf_per_row_multipass_2_3_kernelILj256ELj3ELj32EfEEv20rocsparse_direction_iiiNS_24const_host_device_scalarIT2_EEPKiS6_PKS3_S4_S6_S6_S8_S6_PiPS3_21rocsparse_index_base_SB_SB_b,comdat
	.globl	_ZN9rocsparseL39bsrgeam_wf_per_row_multipass_2_3_kernelILj256ELj3ELj32EfEEv20rocsparse_direction_iiiNS_24const_host_device_scalarIT2_EEPKiS6_PKS3_S4_S6_S6_S8_S6_PiPS3_21rocsparse_index_base_SB_SB_b ; -- Begin function _ZN9rocsparseL39bsrgeam_wf_per_row_multipass_2_3_kernelILj256ELj3ELj32EfEEv20rocsparse_direction_iiiNS_24const_host_device_scalarIT2_EEPKiS6_PKS3_S4_S6_S6_S8_S6_PiPS3_21rocsparse_index_base_SB_SB_b
	.p2align	8
	.type	_ZN9rocsparseL39bsrgeam_wf_per_row_multipass_2_3_kernelILj256ELj3ELj32EfEEv20rocsparse_direction_iiiNS_24const_host_device_scalarIT2_EEPKiS6_PKS3_S4_S6_S6_S8_S6_PiPS3_21rocsparse_index_base_SB_SB_b,@function
_ZN9rocsparseL39bsrgeam_wf_per_row_multipass_2_3_kernelILj256ELj3ELj32EfEEv20rocsparse_direction_iiiNS_24const_host_device_scalarIT2_EEPKiS6_PKS3_S4_S6_S6_S8_S6_PiPS3_21rocsparse_index_base_SB_SB_b: ; @_ZN9rocsparseL39bsrgeam_wf_per_row_multipass_2_3_kernelILj256ELj3ELj32EfEEv20rocsparse_direction_iiiNS_24const_host_device_scalarIT2_EEPKiS6_PKS3_S4_S6_S6_S8_S6_PiPS3_21rocsparse_index_base_SB_SB_b
; %bb.0:
	s_clause 0x2
	s_load_b128 s[4:7], s[0:1], 0x68
	s_load_b64 s[2:3], s[0:1], 0x10
	s_load_b64 s[24:25], s[0:1], 0x30
	s_wait_kmcnt 0x0
	s_bitcmp1_b32 s7, 0
	s_cselect_b32 s7, -1, 0
	s_delay_alu instid0(SALU_CYCLE_1)
	s_and_b32 vcc_lo, exec_lo, s7
	s_xor_b32 s7, s7, -1
	s_cbranch_vccnz .LBB2_2
; %bb.1:
	s_load_b32 s2, s[2:3], 0x0
.LBB2_2:
	s_and_not1_b32 vcc_lo, exec_lo, s7
	s_cbranch_vccnz .LBB2_4
; %bb.3:
	s_load_b32 s24, s[24:25], 0x0
.LBB2_4:
	s_load_b96 s[20:22], s[0:1], 0x0
	v_lshrrev_b32_e32 v7, 5, v0
	s_lshl_b32 s3, ttmp9, 3
	s_delay_alu instid0(VALU_DEP_1) | instid1(SALU_CYCLE_1)
	v_and_or_b32 v1, 0x7fffff8, s3, v7
	s_mov_b32 s3, exec_lo
	s_wait_kmcnt 0x0
	s_delay_alu instid0(VALU_DEP_1)
	v_cmpx_gt_i32_e64 s21, v1
	s_cbranch_execz .LBB2_39
; %bb.5:
	s_clause 0x2
	s_load_b128 s[8:11], s[0:1], 0x18
	s_load_b128 s[12:15], s[0:1], 0x38
	s_load_b64 s[16:17], s[0:1], 0x50
	v_lshlrev_b32_e32 v3, 2, v1
	s_wait_kmcnt 0x0
	s_clause 0x2
	global_load_b64 v[1:2], v3, s[8:9]
	global_load_b64 v[5:6], v3, s[12:13]
	global_load_b32 v8, v3, s[16:17]
	s_wait_loadcnt 0x2
	v_subrev_nc_u32_e32 v3, s4, v1
	v_cmp_lt_i32_e32 vcc_lo, v1, v2
	v_mov_b32_e32 v1, s22
	s_and_saveexec_b32 s3, vcc_lo
	s_cbranch_execz .LBB2_7
; %bb.6:
	v_ashrrev_i32_e32 v4, 31, v3
	s_delay_alu instid0(VALU_DEP_1) | instskip(NEXT) | instid1(VALU_DEP_1)
	v_lshlrev_b64_e32 v[9:10], 2, v[3:4]
	v_add_co_u32 v9, vcc_lo, s10, v9
	s_delay_alu instid0(VALU_DEP_1)
	v_add_co_ci_u32_e64 v10, null, s11, v10, vcc_lo
	global_load_b32 v1, v[9:10], off
	s_wait_loadcnt 0x0
	v_subrev_nc_u32_e32 v1, s4, v1
.LBB2_7:
	s_wait_alu 0xfffe
	s_or_b32 exec_lo, exec_lo, s3
	s_clause 0x2
	s_load_b128 s[16:19], s[0:1], 0x58
	s_load_b64 s[8:9], s[0:1], 0x28
	s_load_b64 s[12:13], s[0:1], 0x48
	s_wait_loadcnt 0x1
	v_subrev_nc_u32_e32 v4, s5, v5
	v_cmp_lt_i32_e32 vcc_lo, v5, v6
	v_mov_b32_e32 v5, s22
	s_and_saveexec_b32 s0, vcc_lo
	s_cbranch_execz .LBB2_9
; %bb.8:
	v_ashrrev_i32_e32 v5, 31, v4
	s_delay_alu instid0(VALU_DEP_1) | instskip(NEXT) | instid1(VALU_DEP_1)
	v_lshlrev_b64_e32 v[9:10], 2, v[4:5]
	v_add_co_u32 v9, vcc_lo, s14, v9
	s_wait_alu 0xfffd
	s_delay_alu instid0(VALU_DEP_2)
	v_add_co_ci_u32_e64 v10, null, s15, v10, vcc_lo
	global_load_b32 v5, v[9:10], off
	s_wait_loadcnt 0x0
	v_subrev_nc_u32_e32 v5, s5, v5
.LBB2_9:
	s_or_b32 exec_lo, exec_lo, s0
	v_and_b32_e32 v9, 31, v0
	s_movk_i32 s0, 0xe0
	s_delay_alu instid0(VALU_DEP_2)
	v_min_i32_e32 v42, v5, v1
	v_and_or_b32 v21, v0, s0, 0x2400
	v_mul_u32_u24_e32 v20, 0x480, v7
	v_add_nc_u32_e32 v0, v3, v9
	v_mul_u32_u24_e32 v1, 36, v9
	v_mbcnt_lo_u32_b32 v3, -1, 0
	v_subrev_nc_u32_e32 v22, s4, v2
	v_subrev_nc_u32_e32 v23, s5, v6
	s_cmp_lg_u32 s20, 0
	v_mad_u32_u24 v25, 0x480, v7, v1
	v_xor_b32_e32 v1, 16, v3
	v_xor_b32_e32 v7, 1, v3
	v_add_nc_u32_e32 v2, v4, v9
	v_xor_b32_e32 v4, 31, v9
	v_xor_b32_e32 v5, 4, v3
	v_cmp_gt_i32_e32 vcc_lo, 32, v1
	v_xor_b32_e32 v6, 2, v3
	s_cselect_b32 s1, -1, 0
	v_lshrrev_b32_e64 v26, v4, -1
	v_xor_b32_e32 v4, 8, v3
	s_wait_alu 0xfffd
	v_cndmask_b32_e32 v1, v3, v1, vcc_lo
	s_cmp_eq_u32 s20, 0
	s_wait_loadcnt 0x0
	v_subrev_nc_u32_e32 v24, s6, v8
	s_cselect_b32 s0, 4, 12
	v_cmp_gt_i32_e32 vcc_lo, 32, v4
	s_cselect_b32 s3, 8, 24
	s_cselect_b32 s7, 20, 28
	;; [unrolled: 1-line block ×4, first 2 shown]
	s_wait_alu 0xfffd
	v_cndmask_b32_e32 v4, v3, v4, vcc_lo
	v_cmp_gt_i32_e32 vcc_lo, 32, v5
	s_wait_alu 0xfffe
	v_dual_mov_b32 v34, 1 :: v_dual_add_nc_u32 v35, s0, v25
	v_add_nc_u32_e32 v36, s3, v25
	v_add_nc_u32_e32 v38, s7, v25
	s_wait_alu 0xfffd
	v_cndmask_b32_e32 v5, v3, v5, vcc_lo
	v_cmp_gt_i32_e32 vcc_lo, 32, v6
	v_add_nc_u32_e32 v39, s20, v25
	v_add_nc_u32_e32 v40, s21, v25
	s_mov_b32 s3, 0
	v_lshlrev_b32_e32 v30, 2, v5
	s_wait_alu 0xfffd
	v_cndmask_b32_e32 v6, v3, v6, vcc_lo
	v_cmp_gt_i32_e32 vcc_lo, 32, v7
	v_add_nc_u32_e32 v27, s6, v9
	s_cselect_b32 s6, 12, 4
	v_add_nc_u32_e32 v33, v21, v9
	v_lshlrev_b32_e32 v31, 2, v6
	s_wait_alu 0xfffd
	v_cndmask_b32_e32 v3, v3, v7, vcc_lo
	v_dual_mov_b32 v4, 0 :: v_dual_lshlrev_b32 v29, 2, v4
	s_wait_alu 0xfffe
	v_add_nc_u32_e32 v37, s6, v25
	s_delay_alu instid0(VALU_DEP_3)
	v_lshlrev_b32_e32 v32, 2, v3
	v_lshlrev_b32_e32 v28, 2, v1
	s_branch .LBB2_11
.LBB2_10:                               ;   in Loop: Header=BB2_11 Depth=1
	s_wait_alu 0xfffe
	s_or_b32 exec_lo, exec_lo, s6
	ds_bpermute_b32 v1, v28, v41
	s_bcnt1_i32_b32 s6, vcc_lo
	s_wait_alu 0xfffe
	v_add_nc_u32_e32 v24, s6, v24
	s_wait_dscnt 0x0
	v_min_i32_e32 v1, v1, v41
	ds_bpermute_b32 v3, v29, v1
	s_wait_dscnt 0x0
	v_min_i32_e32 v1, v3, v1
	ds_bpermute_b32 v3, v30, v1
	s_wait_dscnt 0x0
	v_min_i32_e32 v1, v3, v1
	ds_bpermute_b32 v3, v31, v1
	s_wait_dscnt 0x0
	v_min_i32_e32 v1, v3, v1
	ds_bpermute_b32 v3, v32, v1
	s_wait_dscnt 0x0
	v_min_i32_e32 v42, v3, v1
	s_delay_alu instid0(VALU_DEP_1)
	v_cmp_le_i32_e64 s0, s22, v42
	s_or_b32 s3, s0, s3
	s_wait_alu 0xfffe
	s_and_not1_b32 exec_lo, exec_lo, s3
	s_cbranch_execz .LBB2_39
.LBB2_11:                               ; =>This Loop Header: Depth=1
                                        ;     Child Loop BB2_14 Depth 2
                                        ;     Child Loop BB2_27 Depth 2
	v_mov_b32_e32 v41, s22
	s_mov_b32 s6, exec_lo
	ds_store_2addr_b32 v25, v4, v4 offset1:1
	ds_store_2addr_b32 v25, v4, v4 offset0:2 offset1:3
	ds_store_2addr_b32 v25, v4, v4 offset0:4 offset1:5
	;; [unrolled: 1-line block ×3, first 2 shown]
	ds_store_b8 v33, v4
	ds_store_b32 v25, v4 offset:32
	s_wait_dscnt 0x0
	global_inv scope:SCOPE_SE
	v_cmpx_lt_i32_e64 v0, v22
	s_cbranch_execz .LBB2_24
; %bb.12:                               ;   in Loop: Header=BB2_11 Depth=1
	v_mad_co_u64_u32 v[5:6], null, v0, 9, 8
	v_mov_b32_e32 v41, s22
	s_mov_b32 s7, 0
	s_branch .LBB2_14
.LBB2_13:                               ;   in Loop: Header=BB2_14 Depth=2
	s_wait_alu 0xfffe
	s_or_b32 exec_lo, exec_lo, s21
	s_delay_alu instid0(SALU_CYCLE_1)
	s_and_b32 s0, exec_lo, s20
	s_wait_alu 0xfffe
	s_or_b32 s7, s0, s7
	s_wait_alu 0xfffe
	s_and_not1_b32 exec_lo, exec_lo, s7
	s_cbranch_execz .LBB2_23
.LBB2_14:                               ;   Parent Loop BB2_11 Depth=1
                                        ; =>  This Inner Loop Header: Depth=2
	v_ashrrev_i32_e32 v1, 31, v0
	s_mov_b32 s20, exec_lo
	s_delay_alu instid0(VALU_DEP_1) | instskip(NEXT) | instid1(VALU_DEP_1)
	v_lshlrev_b64_e32 v[6:7], 2, v[0:1]
	v_add_co_u32 v6, vcc_lo, s10, v6
	s_wait_alu 0xfffd
	s_delay_alu instid0(VALU_DEP_2) | instskip(SKIP_3) | instid1(VALU_DEP_1)
	v_add_co_ci_u32_e64 v7, null, s11, v7, vcc_lo
	global_load_b32 v1, v[6:7], off
	s_wait_loadcnt 0x0
	v_subrev_nc_u32_e32 v3, s4, v1
	v_sub_nc_u32_e32 v1, v3, v42
	s_delay_alu instid0(VALU_DEP_1)
	v_cmp_gt_u32_e64 s0, 32, v1
	v_cmpx_lt_u32_e32 31, v1
	s_wait_alu 0xfffe
	s_xor_b32 s20, exec_lo, s20
; %bb.15:                               ;   in Loop: Header=BB2_14 Depth=2
	v_min_i32_e32 v41, v3, v41
                                        ; implicit-def: $vgpr1
; %bb.16:                               ;   in Loop: Header=BB2_14 Depth=2
	s_wait_alu 0xfffe
	s_and_not1_saveexec_b32 s20, s20
	s_cbranch_execz .LBB2_21
; %bb.17:                               ;   in Loop: Header=BB2_14 Depth=2
	v_add_nc_u32_e32 v3, -8, v5
	v_mul_lo_u32 v10, v1, 36
	v_add_nc_u32_e32 v12, v21, v1
	v_add_nc_u32_e32 v11, -2, v5
	v_add_nc_u32_e32 v17, -7, v5
	v_lshlrev_b64_e32 v[6:7], 2, v[3:4]
	v_add_nc_u32_e32 v3, -4, v5
	v_add_nc_u32_e32 v9, -1, v5
	;; [unrolled: 1-line block ×3, first 2 shown]
	v_add_nc_u32_e32 v1, v20, v10
	v_add_nc_u32_e32 v13, -3, v5
	s_wait_kmcnt 0x0
	v_add_co_u32 v6, vcc_lo, s8, v6
	s_wait_alu 0xfffd
	v_add_co_ci_u32_e64 v7, null, s9, v7, vcc_lo
	s_mov_b32 s21, -1
	global_load_b32 v6, v[6:7], off
	v_lshlrev_b64_e32 v[7:8], 2, v[3:4]
	v_add_nc_u32_e32 v3, -5, v5
	s_delay_alu instid0(VALU_DEP_2) | instskip(SKIP_1) | instid1(VALU_DEP_3)
	v_add_co_u32 v7, vcc_lo, s8, v7
	s_wait_alu 0xfffd
	v_add_co_ci_u32_e64 v8, null, s9, v8, vcc_lo
	s_and_not1_b32 vcc_lo, exec_lo, s1
	s_wait_loadcnt 0x0
	v_mul_f32_e32 v6, s2, v6
	ds_store_b8 v12, v34
	ds_store_b32 v1, v6
	s_wait_alu 0xfffe
	s_cbranch_vccnz .LBB2_19
; %bb.18:                               ;   in Loop: Header=BB2_14 Depth=2
	v_mov_b32_e32 v12, v4
	v_mov_b32_e32 v18, v4
	v_lshlrev_b64_e32 v[43:44], 2, v[3:4]
	v_mov_b32_e32 v10, v4
	v_mov_b32_e32 v16, v4
	v_lshlrev_b64_e32 v[45:46], 2, v[11:12]
	v_lshlrev_b64_e32 v[18:19], 2, v[17:18]
	v_mov_b32_e32 v14, v4
	v_add_co_u32 v43, vcc_lo, s8, v43
	v_lshlrev_b64_e32 v[47:48], 2, v[9:10]
	v_mov_b32_e32 v6, v4
	s_wait_alu 0xfffd
	v_add_co_ci_u32_e64 v44, null, s9, v44, vcc_lo
	v_add_co_u32 v45, vcc_lo, s8, v45
	v_lshlrev_b64_e32 v[49:50], 2, v[15:16]
	s_wait_alu 0xfffd
	v_add_co_ci_u32_e64 v46, null, s9, v46, vcc_lo
	v_add_co_u32 v18, vcc_lo, s8, v18
	v_lshlrev_b64_e32 v[51:52], 2, v[13:14]
	;; [unrolled: 4-line block ×3, first 2 shown]
	s_wait_alu 0xfffd
	v_add_co_ci_u32_e64 v48, null, s9, v48, vcc_lo
	v_add_co_u32 v49, vcc_lo, s8, v49
	s_wait_alu 0xfffd
	v_add_co_ci_u32_e64 v50, null, s9, v50, vcc_lo
	v_add_co_u32 v51, vcc_lo, s8, v51
	;; [unrolled: 3-line block ×3, first 2 shown]
	s_wait_alu 0xfffd
	v_add_co_ci_u32_e64 v54, null, s9, v54, vcc_lo
	s_clause 0x7
	global_load_b32 v6, v[43:44], off
	global_load_b32 v10, v[45:46], off
	;; [unrolled: 1-line block ×8, first 2 shown]
	s_mov_b32 s21, 0
	s_wait_loadcnt 0x7
	v_mul_f32_e32 v6, s2, v6
	s_wait_loadcnt 0x6
	v_mul_f32_e32 v10, s2, v10
	;; [unrolled: 2-line block ×5, first 2 shown]
	s_wait_loadcnt 0x1
	v_dual_mul_f32 v18, s2, v18 :: v_dual_mul_f32 v19, s2, v19
	s_wait_loadcnt 0x0
	v_mul_f32_e32 v43, s2, v43
	ds_store_2addr_b32 v1, v6, v10 offset0:1 offset1:2
	ds_store_2addr_b32 v1, v12, v43 offset0:3 offset1:4
	;; [unrolled: 1-line block ×4, first 2 shown]
.LBB2_19:                               ;   in Loop: Header=BB2_14 Depth=2
	s_wait_alu 0xfffe
	s_and_not1_b32 vcc_lo, exec_lo, s21
	s_wait_alu 0xfffe
	s_cbranch_vccnz .LBB2_21
; %bb.20:                               ;   in Loop: Header=BB2_14 Depth=2
	v_mov_b32_e32 v18, v4
	v_mov_b32_e32 v16, v4
	;; [unrolled: 1-line block ×4, first 2 shown]
	v_lshlrev_b64_e32 v[43:44], 2, v[3:4]
	v_lshlrev_b64_e32 v[17:18], 2, v[17:18]
	;; [unrolled: 1-line block ×3, first 2 shown]
	v_mov_b32_e32 v10, v4
	v_lshlrev_b64_e32 v[13:14], 2, v[13:14]
	v_mov_b32_e32 v6, v4
	v_lshlrev_b64_e32 v[11:12], 2, v[11:12]
	v_add_co_u32 v17, vcc_lo, s8, v17
	s_wait_alu 0xfffd
	v_add_co_ci_u32_e64 v18, null, s9, v18, vcc_lo
	v_add_co_u32 v15, vcc_lo, s8, v15
	s_wait_alu 0xfffd
	v_add_co_ci_u32_e64 v16, null, s9, v16, vcc_lo
	v_add_co_u32 v43, vcc_lo, s8, v43
	v_lshlrev_b64_e32 v[9:10], 2, v[9:10]
	s_wait_alu 0xfffd
	v_add_co_ci_u32_e64 v44, null, s9, v44, vcc_lo
	v_add_co_u32 v13, vcc_lo, s8, v13
	v_lshlrev_b64_e32 v[45:46], 2, v[5:6]
	s_wait_alu 0xfffd
	v_add_co_ci_u32_e64 v14, null, s9, v14, vcc_lo
	v_add_co_u32 v11, vcc_lo, s8, v11
	s_wait_alu 0xfffd
	v_add_co_ci_u32_e64 v12, null, s9, v12, vcc_lo
	v_add_co_u32 v9, vcc_lo, s8, v9
	;; [unrolled: 3-line block ×3, first 2 shown]
	s_wait_alu 0xfffd
	v_add_co_ci_u32_e64 v46, null, s9, v46, vcc_lo
	s_clause 0x7
	global_load_b32 v3, v[17:18], off
	global_load_b32 v6, v[15:16], off
	;; [unrolled: 1-line block ×8, first 2 shown]
	s_wait_loadcnt 0x6
	v_dual_mul_f32 v3, s2, v3 :: v_dual_mul_f32 v6, s2, v6
	s_wait_loadcnt 0x5
	v_mul_f32_e32 v8, s2, v15
	s_wait_loadcnt 0x3
	v_dual_mul_f32 v12, s2, v13 :: v_dual_mul_f32 v11, s2, v11
	s_wait_loadcnt 0x1
	v_dual_mul_f32 v9, s2, v9 :: v_dual_mul_f32 v10, s2, v10
	s_wait_loadcnt 0x0
	v_mul_f32_e32 v7, s2, v7
	ds_store_2addr_b32 v1, v3, v6 offset0:1 offset1:2
	ds_store_2addr_b32 v1, v8, v7 offset0:3 offset1:4
	;; [unrolled: 1-line block ×4, first 2 shown]
.LBB2_21:                               ;   in Loop: Header=BB2_14 Depth=2
	s_wait_alu 0xfffe
	s_or_b32 exec_lo, exec_lo, s20
	s_mov_b32 s20, -1
	s_and_saveexec_b32 s21, s0
	s_cbranch_execz .LBB2_13
; %bb.22:                               ;   in Loop: Header=BB2_14 Depth=2
	v_add_nc_u32_e32 v0, 32, v0
	v_add_nc_u32_e32 v5, 0x120, v5
	s_delay_alu instid0(VALU_DEP_2)
	v_cmp_ge_i32_e32 vcc_lo, v0, v22
	s_or_not1_b32 s20, vcc_lo, exec_lo
	s_branch .LBB2_13
.LBB2_23:                               ;   in Loop: Header=BB2_11 Depth=1
	s_or_b32 exec_lo, exec_lo, s7
.LBB2_24:                               ;   in Loop: Header=BB2_11 Depth=1
	s_wait_alu 0xfffe
	s_or_b32 exec_lo, exec_lo, s6
	s_delay_alu instid0(SALU_CYCLE_1)
	s_mov_b32 s6, exec_lo
	s_wait_loadcnt_dscnt 0x0
	global_inv scope:SCOPE_SE
	v_cmpx_lt_i32_e64 v2, v23
	s_cbranch_execz .LBB2_37
; %bb.25:                               ;   in Loop: Header=BB2_11 Depth=1
	v_mad_co_u64_u32 v[5:6], null, v2, 9, 8
	s_mov_b32 s7, 0
	s_branch .LBB2_27
.LBB2_26:                               ;   in Loop: Header=BB2_27 Depth=2
	s_wait_alu 0xfffe
	s_or_b32 exec_lo, exec_lo, s21
	s_delay_alu instid0(SALU_CYCLE_1)
	s_and_b32 s0, exec_lo, s20
	s_wait_alu 0xfffe
	s_or_b32 s7, s0, s7
	s_wait_alu 0xfffe
	s_and_not1_b32 exec_lo, exec_lo, s7
	s_cbranch_execz .LBB2_36
.LBB2_27:                               ;   Parent Loop BB2_11 Depth=1
                                        ; =>  This Inner Loop Header: Depth=2
	v_ashrrev_i32_e32 v3, 31, v2
	s_mov_b32 s20, exec_lo
	s_delay_alu instid0(VALU_DEP_1) | instskip(NEXT) | instid1(VALU_DEP_1)
	v_lshlrev_b64_e32 v[6:7], 2, v[2:3]
	v_add_co_u32 v6, vcc_lo, s14, v6
	s_wait_alu 0xfffd
	s_delay_alu instid0(VALU_DEP_2) | instskip(SKIP_3) | instid1(VALU_DEP_1)
	v_add_co_ci_u32_e64 v7, null, s15, v7, vcc_lo
	global_load_b32 v1, v[6:7], off
	s_wait_loadcnt 0x0
	v_subrev_nc_u32_e32 v1, s5, v1
	v_sub_nc_u32_e32 v8, v1, v42
	s_delay_alu instid0(VALU_DEP_1)
	v_cmp_gt_u32_e64 s0, 32, v8
	v_cmpx_lt_u32_e32 31, v8
	s_wait_alu 0xfffe
	s_xor_b32 s20, exec_lo, s20
; %bb.28:                               ;   in Loop: Header=BB2_27 Depth=2
	v_min_i32_e32 v41, v1, v41
                                        ; implicit-def: $vgpr8
; %bb.29:                               ;   in Loop: Header=BB2_27 Depth=2
	s_wait_alu 0xfffe
	s_and_not1_saveexec_b32 s20, s20
	s_cbranch_execz .LBB2_34
; %bb.30:                               ;   in Loop: Header=BB2_27 Depth=2
	v_add_nc_u32_e32 v3, -8, v5
	v_mul_lo_u32 v1, v8, 36
	v_add_nc_u32_e32 v11, v21, v8
	v_add_nc_u32_e32 v10, -2, v5
	v_add_nc_u32_e32 v18, -7, v5
	v_lshlrev_b64_e32 v[6:7], 2, v[3:4]
	v_add_nc_u32_e32 v3, -4, v5
	v_add_nc_u32_e32 v8, -1, v5
	;; [unrolled: 1-line block ×3, first 2 shown]
	v_add_nc_u32_e32 v1, v20, v1
	v_add_nc_u32_e32 v14, -3, v5
	s_wait_kmcnt 0x0
	v_add_co_u32 v6, vcc_lo, s12, v6
	s_wait_alu 0xfffd
	v_add_co_ci_u32_e64 v7, null, s13, v7, vcc_lo
	v_lshlrev_b64_e32 v[12:13], 2, v[3:4]
	v_add_nc_u32_e32 v3, -5, v5
	s_mov_b32 s21, -1
	global_load_b32 v9, v[6:7], off
	ds_load_2addr_b32 v[6:7], v1 offset1:1
	v_add_co_u32 v12, vcc_lo, s12, v12
	s_wait_alu 0xfffd
	v_add_co_ci_u32_e64 v13, null, s13, v13, vcc_lo
	s_and_not1_b32 vcc_lo, exec_lo, s1
	s_wait_loadcnt_dscnt 0x0
	v_fma_f32 v6, s24, v9, v6
	ds_store_b8 v11, v34
	ds_store_b32 v1, v6
	s_wait_alu 0xfffe
	s_cbranch_vccnz .LBB2_32
; %bb.31:                               ;   in Loop: Header=BB2_27 Depth=2
	v_dual_mov_b32 v11, v4 :: v_dual_mov_b32 v6, v4
	v_mov_b32_e32 v19, v4
	v_lshlrev_b64_e32 v[43:44], 2, v[3:4]
	v_mov_b32_e32 v9, v4
	s_delay_alu instid0(VALU_DEP_4)
	v_lshlrev_b64_e32 v[45:46], 2, v[10:11]
	v_mov_b32_e32 v17, v4
	v_lshlrev_b64_e32 v[47:48], 2, v[18:19]
	v_mov_b32_e32 v15, v4
	v_add_co_u32 v43, vcc_lo, s12, v43
	v_lshlrev_b64_e32 v[49:50], 2, v[8:9]
	s_wait_alu 0xfffd
	v_add_co_ci_u32_e64 v44, null, s13, v44, vcc_lo
	v_add_co_u32 v45, vcc_lo, s12, v45
	v_lshlrev_b64_e32 v[51:52], 2, v[16:17]
	s_wait_alu 0xfffd
	v_add_co_ci_u32_e64 v46, null, s13, v46, vcc_lo
	;; [unrolled: 4-line block ×4, first 2 shown]
	v_add_co_u32 v51, vcc_lo, s12, v51
	s_wait_alu 0xfffd
	v_add_co_ci_u32_e64 v52, null, s13, v52, vcc_lo
	v_add_co_u32 v53, vcc_lo, s12, v53
	global_load_b32 v9, v[12:13], off
	s_wait_alu 0xfffd
	v_add_co_ci_u32_e64 v54, null, s13, v54, vcc_lo
	v_add_co_u32 v55, vcc_lo, s12, v55
	s_wait_alu 0xfffd
	v_add_co_ci_u32_e64 v56, null, s13, v56, vcc_lo
	s_clause 0x6
	global_load_b32 v6, v[43:44], off
	global_load_b32 v11, v[45:46], off
	;; [unrolled: 1-line block ×7, first 2 shown]
	ds_load_2addr_b32 v[43:44], v1 offset0:4 offset1:5
	ds_load_2addr_b32 v[45:46], v1 offset0:2 offset1:3
	;; [unrolled: 1-line block ×3, first 2 shown]
	ds_load_b32 v51, v1 offset:32
	s_mov_b32 s21, 0
	s_wait_loadcnt_dscnt 0x703
	v_fma_f32 v9, s24, v9, v43
	s_wait_loadcnt 0x6
	v_fma_f32 v6, s24, v6, v7
	s_wait_loadcnt_dscnt 0x502
	v_fma_f32 v11, s24, v11, v45
	s_wait_loadcnt 0x4
	v_fmac_f32_e32 v46, s24, v15
	s_wait_loadcnt 0x3
	v_fmac_f32_e32 v44, s24, v17
	s_wait_loadcnt_dscnt 0x201
	v_fma_f32 v15, s24, v19, v47
	s_wait_loadcnt_dscnt 0x0
	v_dual_fmac_f32 v48, s24, v49 :: v_dual_fmac_f32 v51, s24, v50
	ds_store_2addr_b32 v1, v6, v11 offset0:1 offset1:2
	ds_store_2addr_b32 v1, v46, v9 offset0:3 offset1:4
	;; [unrolled: 1-line block ×4, first 2 shown]
.LBB2_32:                               ;   in Loop: Header=BB2_27 Depth=2
	s_wait_alu 0xfffe
	s_and_not1_b32 vcc_lo, exec_lo, s21
	s_wait_alu 0xfffe
	s_cbranch_vccnz .LBB2_34
; %bb.33:                               ;   in Loop: Header=BB2_27 Depth=2
	v_dual_mov_b32 v19, v4 :: v_dual_mov_b32 v6, v4
	v_mov_b32_e32 v17, v4
	v_mov_b32_e32 v15, v4
	v_lshlrev_b64_e32 v[43:44], 2, v[3:4]
	s_delay_alu instid0(VALU_DEP_4)
	v_lshlrev_b64_e32 v[18:19], 2, v[18:19]
	v_mov_b32_e32 v11, v4
	v_lshlrev_b64_e32 v[16:17], 2, v[16:17]
	v_lshlrev_b64_e32 v[14:15], 2, v[14:15]
	v_mov_b32_e32 v9, v4
	global_load_b32 v3, v[12:13], off
	v_add_co_u32 v18, vcc_lo, s12, v18
	s_wait_alu 0xfffd
	v_add_co_ci_u32_e64 v19, null, s13, v19, vcc_lo
	v_add_co_u32 v16, vcc_lo, s12, v16
	s_wait_alu 0xfffd
	v_add_co_ci_u32_e64 v17, null, s13, v17, vcc_lo
	v_add_co_u32 v43, vcc_lo, s12, v43
	v_lshlrev_b64_e32 v[10:11], 2, v[10:11]
	s_wait_alu 0xfffd
	v_add_co_ci_u32_e64 v44, null, s13, v44, vcc_lo
	v_add_co_u32 v12, vcc_lo, s12, v14
	v_lshlrev_b64_e32 v[8:9], 2, v[8:9]
	s_wait_alu 0xfffd
	v_add_co_ci_u32_e64 v13, null, s13, v15, vcc_lo
	v_lshlrev_b64_e32 v[14:15], 2, v[5:6]
	v_add_co_u32 v10, vcc_lo, s12, v10
	s_wait_alu 0xfffd
	v_add_co_ci_u32_e64 v11, null, s13, v11, vcc_lo
	v_add_co_u32 v8, vcc_lo, s12, v8
	s_wait_alu 0xfffd
	v_add_co_ci_u32_e64 v9, null, s13, v9, vcc_lo
	;; [unrolled: 3-line block ×3, first 2 shown]
	s_clause 0x6
	global_load_b32 v6, v[18:19], off
	global_load_b32 v16, v[16:17], off
	;; [unrolled: 1-line block ×7, first 2 shown]
	ds_load_2addr_b32 v[8:9], v1 offset0:4 offset1:5
	ds_load_2addr_b32 v[10:11], v1 offset0:2 offset1:3
	;; [unrolled: 1-line block ×3, first 2 shown]
	ds_load_b32 v15, v1 offset:32
	s_wait_loadcnt_dscnt 0x703
	v_fma_f32 v3, s24, v3, v8
	s_wait_loadcnt 0x6
	v_fmac_f32_e32 v7, s24, v6
	s_wait_loadcnt_dscnt 0x502
	v_fma_f32 v6, s24, v16, v10
	s_wait_loadcnt 0x4
	v_fmac_f32_e32 v11, s24, v17
	s_wait_loadcnt 0x3
	v_fmac_f32_e32 v9, s24, v18
	s_wait_loadcnt_dscnt 0x201
	v_fma_f32 v8, s24, v19, v12
	s_wait_loadcnt 0x1
	v_fmac_f32_e32 v13, s24, v43
	s_wait_loadcnt_dscnt 0x0
	v_fmac_f32_e32 v15, s24, v14
	ds_store_2addr_b32 v1, v7, v6 offset0:1 offset1:2
	ds_store_2addr_b32 v1, v11, v3 offset0:3 offset1:4
	;; [unrolled: 1-line block ×4, first 2 shown]
.LBB2_34:                               ;   in Loop: Header=BB2_27 Depth=2
	s_wait_alu 0xfffe
	s_or_b32 exec_lo, exec_lo, s20
	s_mov_b32 s20, -1
	s_and_saveexec_b32 s21, s0
	s_cbranch_execz .LBB2_26
; %bb.35:                               ;   in Loop: Header=BB2_27 Depth=2
	v_add_nc_u32_e32 v2, 32, v2
	v_add_nc_u32_e32 v5, 0x120, v5
	s_delay_alu instid0(VALU_DEP_2)
	v_cmp_ge_i32_e32 vcc_lo, v2, v23
	s_or_not1_b32 s20, vcc_lo, exec_lo
	s_branch .LBB2_26
.LBB2_36:                               ;   in Loop: Header=BB2_11 Depth=1
	s_or_b32 exec_lo, exec_lo, s7
.LBB2_37:                               ;   in Loop: Header=BB2_11 Depth=1
	s_wait_alu 0xfffe
	s_or_b32 exec_lo, exec_lo, s6
	s_wait_loadcnt_dscnt 0x0
	global_inv scope:SCOPE_SE
	ds_load_u8 v1, v33
	s_mov_b32 s6, exec_lo
	s_wait_dscnt 0x0
	v_and_b32_e32 v3, 1, v1
	v_cmp_ne_u16_e32 vcc_lo, 0, v1
	s_delay_alu instid0(VALU_DEP_2)
	v_cmpx_eq_u32_e32 1, v3
	s_cbranch_execz .LBB2_10
; %bb.38:                               ;   in Loop: Header=BB2_11 Depth=1
	s_wait_alu 0xfffd
	v_dual_mov_b32 v10, v4 :: v_dual_and_b32 v1, vcc_lo, v26
	ds_load_2addr_b32 v[7:8], v25 offset1:4
	v_mov_b32_e32 v12, v4
	v_mov_b32_e32 v18, v4
	v_bcnt_u32_b32 v1, v1, 0
	v_mov_b32_e32 v43, v4
	v_mov_b32_e32 v45, v4
	s_delay_alu instid0(VALU_DEP_3) | instskip(SKIP_1) | instid1(VALU_DEP_2)
	v_add3_u32 v5, v24, v1, -1
	v_add_nc_u32_e32 v1, v27, v42
	v_ashrrev_i32_e32 v6, 31, v5
	v_lshl_add_u32 v3, v5, 3, v5
	v_mov_b32_e32 v14, v4
	s_delay_alu instid0(VALU_DEP_3) | instskip(NEXT) | instid1(VALU_DEP_3)
	v_lshlrev_b64_e32 v[5:6], 2, v[5:6]
	v_add_nc_u32_e32 v9, 1, v3
	v_add_nc_u32_e32 v11, 2, v3
	v_lshlrev_b64_e32 v[15:16], 2, v[3:4]
	v_add_nc_u32_e32 v17, 4, v3
	v_add_nc_u32_e32 v13, 3, v3
	s_wait_kmcnt 0x0
	v_add_co_u32 v5, s0, s16, v5
	v_lshlrev_b64_e32 v[9:10], 2, v[9:10]
	s_wait_alu 0xf1ff
	v_add_co_ci_u32_e64 v6, null, s17, v6, s0
	v_lshlrev_b64_e32 v[11:12], 2, v[11:12]
	v_add_co_u32 v15, s0, s18, v15
	s_wait_alu 0xf1ff
	v_add_co_ci_u32_e64 v16, null, s19, v16, s0
	global_store_b32 v[5:6], v1, off
	v_add_co_u32 v5, s0, s18, v9
	s_wait_alu 0xf1ff
	v_add_co_ci_u32_e64 v6, null, s19, v10, s0
	v_add_co_u32 v9, s0, s18, v11
	ds_load_b32 v1, v35
	ds_load_b32 v19, v36
	;; [unrolled: 1-line block ×6, first 2 shown]
	ds_load_b32 v52, v25 offset:32
	s_wait_alu 0xf1ff
	v_add_co_ci_u32_e64 v10, null, s19, v12, s0
	v_lshlrev_b64_e32 v[11:12], 2, v[17:18]
	v_add_nc_u32_e32 v17, 5, v3
	v_lshlrev_b64_e32 v[13:14], 2, v[13:14]
	v_add_nc_u32_e32 v42, 6, v3
	v_add_nc_u32_e32 v44, 7, v3
	;; [unrolled: 1-line block ×3, first 2 shown]
	v_lshlrev_b64_e32 v[17:18], 2, v[17:18]
	v_add_co_u32 v13, s0, s18, v13
	v_lshlrev_b64_e32 v[42:43], 2, v[42:43]
	s_wait_alu 0xf1ff
	v_add_co_ci_u32_e64 v14, null, s19, v14, s0
	v_add_co_u32 v11, s0, s18, v11
	v_lshlrev_b64_e32 v[44:45], 2, v[44:45]
	s_wait_alu 0xf1ff
	v_add_co_ci_u32_e64 v12, null, s19, v12, s0
	;; [unrolled: 4-line block ×3, first 2 shown]
	v_add_co_u32 v42, s0, s18, v42
	s_wait_alu 0xf1ff
	v_add_co_ci_u32_e64 v43, null, s19, v43, s0
	v_add_co_u32 v44, s0, s18, v44
	s_wait_alu 0xf1ff
	v_add_co_ci_u32_e64 v45, null, s19, v45, s0
	;; [unrolled: 3-line block ×3, first 2 shown]
	s_wait_dscnt 0x7
	global_store_b32 v[15:16], v7, off
	s_wait_dscnt 0x6
	global_store_b32 v[5:6], v1, off
	;; [unrolled: 2-line block ×3, first 2 shown]
	s_wait_dscnt 0x4
	s_clause 0x1
	global_store_b32 v[13:14], v48, off
	global_store_b32 v[11:12], v8, off
	s_wait_dscnt 0x3
	global_store_b32 v[17:18], v49, off
	s_wait_dscnt 0x2
	;; [unrolled: 2-line block ×4, first 2 shown]
	global_store_b32 v[46:47], v52, off
	s_branch .LBB2_10
.LBB2_39:
	s_endpgm
	.section	.rodata,"a",@progbits
	.p2align	6, 0x0
	.amdhsa_kernel _ZN9rocsparseL39bsrgeam_wf_per_row_multipass_2_3_kernelILj256ELj3ELj32EfEEv20rocsparse_direction_iiiNS_24const_host_device_scalarIT2_EEPKiS6_PKS3_S4_S6_S6_S8_S6_PiPS3_21rocsparse_index_base_SB_SB_b
		.amdhsa_group_segment_fixed_size 9472
		.amdhsa_private_segment_fixed_size 0
		.amdhsa_kernarg_size 120
		.amdhsa_user_sgpr_count 2
		.amdhsa_user_sgpr_dispatch_ptr 0
		.amdhsa_user_sgpr_queue_ptr 0
		.amdhsa_user_sgpr_kernarg_segment_ptr 1
		.amdhsa_user_sgpr_dispatch_id 0
		.amdhsa_user_sgpr_private_segment_size 0
		.amdhsa_wavefront_size32 1
		.amdhsa_uses_dynamic_stack 0
		.amdhsa_enable_private_segment 0
		.amdhsa_system_sgpr_workgroup_id_x 1
		.amdhsa_system_sgpr_workgroup_id_y 0
		.amdhsa_system_sgpr_workgroup_id_z 0
		.amdhsa_system_sgpr_workgroup_info 0
		.amdhsa_system_vgpr_workitem_id 0
		.amdhsa_next_free_vgpr 57
		.amdhsa_next_free_sgpr 26
		.amdhsa_reserve_vcc 1
		.amdhsa_float_round_mode_32 0
		.amdhsa_float_round_mode_16_64 0
		.amdhsa_float_denorm_mode_32 3
		.amdhsa_float_denorm_mode_16_64 3
		.amdhsa_fp16_overflow 0
		.amdhsa_workgroup_processor_mode 1
		.amdhsa_memory_ordered 1
		.amdhsa_forward_progress 1
		.amdhsa_inst_pref_size 32
		.amdhsa_round_robin_scheduling 0
		.amdhsa_exception_fp_ieee_invalid_op 0
		.amdhsa_exception_fp_denorm_src 0
		.amdhsa_exception_fp_ieee_div_zero 0
		.amdhsa_exception_fp_ieee_overflow 0
		.amdhsa_exception_fp_ieee_underflow 0
		.amdhsa_exception_fp_ieee_inexact 0
		.amdhsa_exception_int_div_zero 0
	.end_amdhsa_kernel
	.section	.text._ZN9rocsparseL39bsrgeam_wf_per_row_multipass_2_3_kernelILj256ELj3ELj32EfEEv20rocsparse_direction_iiiNS_24const_host_device_scalarIT2_EEPKiS6_PKS3_S4_S6_S6_S8_S6_PiPS3_21rocsparse_index_base_SB_SB_b,"axG",@progbits,_ZN9rocsparseL39bsrgeam_wf_per_row_multipass_2_3_kernelILj256ELj3ELj32EfEEv20rocsparse_direction_iiiNS_24const_host_device_scalarIT2_EEPKiS6_PKS3_S4_S6_S6_S8_S6_PiPS3_21rocsparse_index_base_SB_SB_b,comdat
.Lfunc_end2:
	.size	_ZN9rocsparseL39bsrgeam_wf_per_row_multipass_2_3_kernelILj256ELj3ELj32EfEEv20rocsparse_direction_iiiNS_24const_host_device_scalarIT2_EEPKiS6_PKS3_S4_S6_S6_S8_S6_PiPS3_21rocsparse_index_base_SB_SB_b, .Lfunc_end2-_ZN9rocsparseL39bsrgeam_wf_per_row_multipass_2_3_kernelILj256ELj3ELj32EfEEv20rocsparse_direction_iiiNS_24const_host_device_scalarIT2_EEPKiS6_PKS3_S4_S6_S6_S8_S6_PiPS3_21rocsparse_index_base_SB_SB_b
                                        ; -- End function
	.set _ZN9rocsparseL39bsrgeam_wf_per_row_multipass_2_3_kernelILj256ELj3ELj32EfEEv20rocsparse_direction_iiiNS_24const_host_device_scalarIT2_EEPKiS6_PKS3_S4_S6_S6_S8_S6_PiPS3_21rocsparse_index_base_SB_SB_b.num_vgpr, 57
	.set _ZN9rocsparseL39bsrgeam_wf_per_row_multipass_2_3_kernelILj256ELj3ELj32EfEEv20rocsparse_direction_iiiNS_24const_host_device_scalarIT2_EEPKiS6_PKS3_S4_S6_S6_S8_S6_PiPS3_21rocsparse_index_base_SB_SB_b.num_agpr, 0
	.set _ZN9rocsparseL39bsrgeam_wf_per_row_multipass_2_3_kernelILj256ELj3ELj32EfEEv20rocsparse_direction_iiiNS_24const_host_device_scalarIT2_EEPKiS6_PKS3_S4_S6_S6_S8_S6_PiPS3_21rocsparse_index_base_SB_SB_b.numbered_sgpr, 26
	.set _ZN9rocsparseL39bsrgeam_wf_per_row_multipass_2_3_kernelILj256ELj3ELj32EfEEv20rocsparse_direction_iiiNS_24const_host_device_scalarIT2_EEPKiS6_PKS3_S4_S6_S6_S8_S6_PiPS3_21rocsparse_index_base_SB_SB_b.num_named_barrier, 0
	.set _ZN9rocsparseL39bsrgeam_wf_per_row_multipass_2_3_kernelILj256ELj3ELj32EfEEv20rocsparse_direction_iiiNS_24const_host_device_scalarIT2_EEPKiS6_PKS3_S4_S6_S6_S8_S6_PiPS3_21rocsparse_index_base_SB_SB_b.private_seg_size, 0
	.set _ZN9rocsparseL39bsrgeam_wf_per_row_multipass_2_3_kernelILj256ELj3ELj32EfEEv20rocsparse_direction_iiiNS_24const_host_device_scalarIT2_EEPKiS6_PKS3_S4_S6_S6_S8_S6_PiPS3_21rocsparse_index_base_SB_SB_b.uses_vcc, 1
	.set _ZN9rocsparseL39bsrgeam_wf_per_row_multipass_2_3_kernelILj256ELj3ELj32EfEEv20rocsparse_direction_iiiNS_24const_host_device_scalarIT2_EEPKiS6_PKS3_S4_S6_S6_S8_S6_PiPS3_21rocsparse_index_base_SB_SB_b.uses_flat_scratch, 0
	.set _ZN9rocsparseL39bsrgeam_wf_per_row_multipass_2_3_kernelILj256ELj3ELj32EfEEv20rocsparse_direction_iiiNS_24const_host_device_scalarIT2_EEPKiS6_PKS3_S4_S6_S6_S8_S6_PiPS3_21rocsparse_index_base_SB_SB_b.has_dyn_sized_stack, 0
	.set _ZN9rocsparseL39bsrgeam_wf_per_row_multipass_2_3_kernelILj256ELj3ELj32EfEEv20rocsparse_direction_iiiNS_24const_host_device_scalarIT2_EEPKiS6_PKS3_S4_S6_S6_S8_S6_PiPS3_21rocsparse_index_base_SB_SB_b.has_recursion, 0
	.set _ZN9rocsparseL39bsrgeam_wf_per_row_multipass_2_3_kernelILj256ELj3ELj32EfEEv20rocsparse_direction_iiiNS_24const_host_device_scalarIT2_EEPKiS6_PKS3_S4_S6_S6_S8_S6_PiPS3_21rocsparse_index_base_SB_SB_b.has_indirect_call, 0
	.section	.AMDGPU.csdata,"",@progbits
; Kernel info:
; codeLenInByte = 4004
; TotalNumSgprs: 28
; NumVgprs: 57
; ScratchSize: 0
; MemoryBound: 0
; FloatMode: 240
; IeeeMode: 1
; LDSByteSize: 9472 bytes/workgroup (compile time only)
; SGPRBlocks: 0
; VGPRBlocks: 7
; NumSGPRsForWavesPerEU: 28
; NumVGPRsForWavesPerEU: 57
; Occupancy: 16
; WaveLimiterHint : 1
; COMPUTE_PGM_RSRC2:SCRATCH_EN: 0
; COMPUTE_PGM_RSRC2:USER_SGPR: 2
; COMPUTE_PGM_RSRC2:TRAP_HANDLER: 0
; COMPUTE_PGM_RSRC2:TGID_X_EN: 1
; COMPUTE_PGM_RSRC2:TGID_Y_EN: 0
; COMPUTE_PGM_RSRC2:TGID_Z_EN: 0
; COMPUTE_PGM_RSRC2:TIDIG_COMP_CNT: 0
	.section	.text._ZN9rocsparseL39bsrgeam_wf_per_row_multipass_2_3_kernelILj256ELj3ELj64EfEEv20rocsparse_direction_iiiNS_24const_host_device_scalarIT2_EEPKiS6_PKS3_S4_S6_S6_S8_S6_PiPS3_21rocsparse_index_base_SB_SB_b,"axG",@progbits,_ZN9rocsparseL39bsrgeam_wf_per_row_multipass_2_3_kernelILj256ELj3ELj64EfEEv20rocsparse_direction_iiiNS_24const_host_device_scalarIT2_EEPKiS6_PKS3_S4_S6_S6_S8_S6_PiPS3_21rocsparse_index_base_SB_SB_b,comdat
	.globl	_ZN9rocsparseL39bsrgeam_wf_per_row_multipass_2_3_kernelILj256ELj3ELj64EfEEv20rocsparse_direction_iiiNS_24const_host_device_scalarIT2_EEPKiS6_PKS3_S4_S6_S6_S8_S6_PiPS3_21rocsparse_index_base_SB_SB_b ; -- Begin function _ZN9rocsparseL39bsrgeam_wf_per_row_multipass_2_3_kernelILj256ELj3ELj64EfEEv20rocsparse_direction_iiiNS_24const_host_device_scalarIT2_EEPKiS6_PKS3_S4_S6_S6_S8_S6_PiPS3_21rocsparse_index_base_SB_SB_b
	.p2align	8
	.type	_ZN9rocsparseL39bsrgeam_wf_per_row_multipass_2_3_kernelILj256ELj3ELj64EfEEv20rocsparse_direction_iiiNS_24const_host_device_scalarIT2_EEPKiS6_PKS3_S4_S6_S6_S8_S6_PiPS3_21rocsparse_index_base_SB_SB_b,@function
_ZN9rocsparseL39bsrgeam_wf_per_row_multipass_2_3_kernelILj256ELj3ELj64EfEEv20rocsparse_direction_iiiNS_24const_host_device_scalarIT2_EEPKiS6_PKS3_S4_S6_S6_S8_S6_PiPS3_21rocsparse_index_base_SB_SB_b: ; @_ZN9rocsparseL39bsrgeam_wf_per_row_multipass_2_3_kernelILj256ELj3ELj64EfEEv20rocsparse_direction_iiiNS_24const_host_device_scalarIT2_EEPKiS6_PKS3_S4_S6_S6_S8_S6_PiPS3_21rocsparse_index_base_SB_SB_b
; %bb.0:
	s_clause 0x2
	s_load_b128 s[4:7], s[0:1], 0x68
	s_load_b64 s[2:3], s[0:1], 0x10
	s_load_b64 s[24:25], s[0:1], 0x30
	s_wait_kmcnt 0x0
	s_bitcmp1_b32 s7, 0
	s_cselect_b32 s7, -1, 0
	s_delay_alu instid0(SALU_CYCLE_1)
	s_and_b32 vcc_lo, exec_lo, s7
	s_xor_b32 s7, s7, -1
	s_cbranch_vccnz .LBB3_2
; %bb.1:
	s_load_b32 s2, s[2:3], 0x0
.LBB3_2:
	s_and_not1_b32 vcc_lo, exec_lo, s7
	s_cbranch_vccnz .LBB3_4
; %bb.3:
	s_load_b32 s24, s[24:25], 0x0
.LBB3_4:
	s_load_b96 s[20:22], s[0:1], 0x0
	v_lshrrev_b32_e32 v7, 6, v0
	s_lshl_b32 s3, ttmp9, 2
	s_delay_alu instid0(VALU_DEP_1) | instid1(SALU_CYCLE_1)
	v_and_or_b32 v1, 0x3fffffc, s3, v7
	s_mov_b32 s3, exec_lo
	s_wait_kmcnt 0x0
	s_delay_alu instid0(VALU_DEP_1)
	v_cmpx_gt_i32_e64 s21, v1
	s_cbranch_execz .LBB3_39
; %bb.5:
	s_clause 0x2
	s_load_b128 s[8:11], s[0:1], 0x18
	s_load_b128 s[12:15], s[0:1], 0x38
	s_load_b64 s[16:17], s[0:1], 0x50
	v_lshlrev_b32_e32 v1, 2, v1
	s_wait_kmcnt 0x0
	s_clause 0x2
	global_load_b64 v[5:6], v1, s[8:9]
	global_load_b64 v[3:4], v1, s[12:13]
	global_load_b32 v8, v1, s[16:17]
	s_wait_loadcnt 0x2
	v_subrev_nc_u32_e32 v1, s4, v5
	v_cmp_lt_i32_e32 vcc_lo, v5, v6
	v_mov_b32_e32 v5, s22
	s_and_saveexec_b32 s3, vcc_lo
	s_cbranch_execz .LBB3_7
; %bb.6:
	v_ashrrev_i32_e32 v2, 31, v1
	s_delay_alu instid0(VALU_DEP_1) | instskip(NEXT) | instid1(VALU_DEP_1)
	v_lshlrev_b64_e32 v[9:10], 2, v[1:2]
	v_add_co_u32 v9, vcc_lo, s10, v9
	s_delay_alu instid0(VALU_DEP_1)
	v_add_co_ci_u32_e64 v10, null, s11, v10, vcc_lo
	global_load_b32 v2, v[9:10], off
	s_wait_loadcnt 0x0
	v_subrev_nc_u32_e32 v5, s4, v2
.LBB3_7:
	s_wait_alu 0xfffe
	s_or_b32 exec_lo, exec_lo, s3
	s_clause 0x2
	s_load_b128 s[16:19], s[0:1], 0x58
	s_load_b64 s[8:9], s[0:1], 0x28
	s_load_b64 s[12:13], s[0:1], 0x48
	s_wait_loadcnt 0x1
	v_subrev_nc_u32_e32 v2, s5, v3
	v_cmp_lt_i32_e32 vcc_lo, v3, v4
	v_mov_b32_e32 v3, s22
	s_and_saveexec_b32 s0, vcc_lo
	s_cbranch_execz .LBB3_9
; %bb.8:
	v_ashrrev_i32_e32 v3, 31, v2
	s_delay_alu instid0(VALU_DEP_1) | instskip(NEXT) | instid1(VALU_DEP_1)
	v_lshlrev_b64_e32 v[9:10], 2, v[2:3]
	v_add_co_u32 v9, vcc_lo, s14, v9
	s_wait_alu 0xfffd
	s_delay_alu instid0(VALU_DEP_2)
	v_add_co_ci_u32_e64 v10, null, s15, v10, vcc_lo
	global_load_b32 v3, v[9:10], off
	s_wait_loadcnt 0x0
	v_subrev_nc_u32_e32 v3, s5, v3
.LBB3_9:
	s_or_b32 exec_lo, exec_lo, s0
	v_subrev_nc_u32_e32 v24, s4, v6
	s_wait_loadcnt 0x0
	v_subrev_nc_u32_e32 v26, s6, v8
	v_mbcnt_lo_u32_b32 v8, -1, 0
	v_and_b32_e32 v6, 63, v0
	s_movk_i32 s0, 0xc0
	v_min_i32_e32 v44, v3, v5
	v_and_or_b32 v23, v0, s0, 0x2400
	v_mul_u32_u24_e32 v22, 0x900, v7
	v_add_nc_u32_e32 v0, v1, v6
	v_or_b32_e32 v1, 32, v8
	v_subrev_nc_u32_e32 v25, s5, v4
	v_xor_b32_e32 v9, 1, v8
	s_cmp_lg_u32 s20, 0
	v_mov_b32_e32 v36, 1
	v_cmp_gt_i32_e32 vcc_lo, 32, v1
	s_cselect_b32 s1, -1, 0
	s_cmp_eq_u32 s20, 0
	s_cselect_b32 s0, 4, 12
	s_wait_alu 0xfffd
	v_cndmask_b32_e32 v1, v8, v1, vcc_lo
	v_mul_u32_u24_e32 v3, 36, v6
	s_cselect_b32 s3, 8, 24
	s_cselect_b32 s7, 20, 28
	;; [unrolled: 1-line block ×3, first 2 shown]
	v_lshlrev_b32_e32 v29, 2, v1
	v_mad_u32_u24 v27, 0x900, v7, v3
	v_xor_b32_e32 v7, 16, v8
	v_xor_b32_e32 v3, 63, v6
	;; [unrolled: 1-line block ×3, first 2 shown]
	s_cselect_b32 s21, 28, 20
	v_add_nc_u32_e32 v35, v23, v6
	v_cmp_gt_i32_e32 vcc_lo, 32, v7
	v_lshrrev_b64 v[4:5], v3, -1
	v_xor_b32_e32 v5, 4, v8
	s_wait_alu 0xfffe
	v_add_nc_u32_e32 v37, s0, v27
	v_add_nc_u32_e32 v38, s3, v27
	s_wait_alu 0xfffd
	v_cndmask_b32_e32 v3, v8, v7, vcc_lo
	v_cmp_gt_i32_e32 vcc_lo, 32, v1
	v_add_nc_u32_e32 v2, v2, v6
	v_xor_b32_e32 v7, 2, v8
	v_add_nc_u32_e32 v40, s7, v27
	s_wait_alu 0xfffd
	v_dual_cndmask_b32 v1, v8, v1 :: v_dual_lshlrev_b32 v30, 2, v3
	v_cmp_gt_i32_e32 vcc_lo, 32, v5
	v_add_nc_u32_e32 v28, s6, v6
	s_cselect_b32 s6, 12, 4
	s_delay_alu instid0(VALU_DEP_3)
	v_dual_mov_b32 v6, 0 :: v_dual_lshlrev_b32 v31, 2, v1
	s_wait_alu 0xfffd
	v_cndmask_b32_e32 v5, v8, v5, vcc_lo
	v_cmp_gt_i32_e32 vcc_lo, 32, v7
	s_wait_alu 0xfffe
	v_add_nc_u32_e32 v39, s6, v27
	v_add_nc_u32_e32 v41, s20, v27
	;; [unrolled: 1-line block ×3, first 2 shown]
	s_wait_alu 0xfffd
	v_dual_cndmask_b32 v7, v8, v7 :: v_dual_lshlrev_b32 v32, 2, v5
	v_cmp_gt_i32_e32 vcc_lo, 32, v9
	s_mov_b32 s3, 0
	s_wait_alu 0xfffd
	s_delay_alu instid0(VALU_DEP_2) | instskip(NEXT) | instid1(VALU_DEP_1)
	v_dual_cndmask_b32 v8, v8, v9 :: v_dual_lshlrev_b32 v33, 2, v7
	v_lshlrev_b32_e32 v34, 2, v8
	s_branch .LBB3_11
.LBB3_10:                               ;   in Loop: Header=BB3_11 Depth=1
	s_wait_alu 0xfffe
	s_or_b32 exec_lo, exec_lo, s6
	ds_bpermute_b32 v1, v29, v43
	s_bcnt1_i32_b32 s6, vcc_lo
	s_wait_alu 0xfffe
	v_add_nc_u32_e32 v26, s6, v26
	s_wait_dscnt 0x0
	v_min_i32_e32 v1, v1, v43
	ds_bpermute_b32 v3, v30, v1
	s_wait_dscnt 0x0
	v_min_i32_e32 v1, v3, v1
	ds_bpermute_b32 v3, v31, v1
	;; [unrolled: 3-line block ×5, first 2 shown]
	s_wait_dscnt 0x0
	v_min_i32_e32 v44, v3, v1
	s_delay_alu instid0(VALU_DEP_1)
	v_cmp_le_i32_e64 s0, s22, v44
	s_or_b32 s3, s0, s3
	s_wait_alu 0xfffe
	s_and_not1_b32 exec_lo, exec_lo, s3
	s_cbranch_execz .LBB3_39
.LBB3_11:                               ; =>This Loop Header: Depth=1
                                        ;     Child Loop BB3_14 Depth 2
                                        ;     Child Loop BB3_27 Depth 2
	v_mov_b32_e32 v43, s22
	s_mov_b32 s6, exec_lo
	ds_store_2addr_b32 v27, v6, v6 offset1:1
	ds_store_2addr_b32 v27, v6, v6 offset0:2 offset1:3
	ds_store_2addr_b32 v27, v6, v6 offset0:4 offset1:5
	;; [unrolled: 1-line block ×3, first 2 shown]
	ds_store_b8 v35, v6
	ds_store_b32 v27, v6 offset:32
	s_wait_dscnt 0x0
	global_inv scope:SCOPE_SE
	v_cmpx_lt_i32_e64 v0, v24
	s_cbranch_execz .LBB3_24
; %bb.12:                               ;   in Loop: Header=BB3_11 Depth=1
	v_mad_co_u64_u32 v[7:8], null, v0, 9, 8
	v_mov_b32_e32 v43, s22
	s_mov_b32 s7, 0
	s_branch .LBB3_14
.LBB3_13:                               ;   in Loop: Header=BB3_14 Depth=2
	s_wait_alu 0xfffe
	s_or_b32 exec_lo, exec_lo, s21
	s_delay_alu instid0(SALU_CYCLE_1)
	s_and_b32 s0, exec_lo, s20
	s_wait_alu 0xfffe
	s_or_b32 s7, s0, s7
	s_wait_alu 0xfffe
	s_and_not1_b32 exec_lo, exec_lo, s7
	s_cbranch_execz .LBB3_23
.LBB3_14:                               ;   Parent Loop BB3_11 Depth=1
                                        ; =>  This Inner Loop Header: Depth=2
	v_ashrrev_i32_e32 v1, 31, v0
	s_mov_b32 s20, exec_lo
	s_delay_alu instid0(VALU_DEP_1) | instskip(NEXT) | instid1(VALU_DEP_1)
	v_lshlrev_b64_e32 v[8:9], 2, v[0:1]
	v_add_co_u32 v8, vcc_lo, s10, v8
	s_wait_alu 0xfffd
	s_delay_alu instid0(VALU_DEP_2) | instskip(SKIP_3) | instid1(VALU_DEP_1)
	v_add_co_ci_u32_e64 v9, null, s11, v9, vcc_lo
	global_load_b32 v1, v[8:9], off
	s_wait_loadcnt 0x0
	v_subrev_nc_u32_e32 v3, s4, v1
	v_sub_nc_u32_e32 v1, v3, v44
	s_delay_alu instid0(VALU_DEP_1)
	v_cmp_gt_u32_e64 s0, 64, v1
	v_cmpx_lt_u32_e32 63, v1
	s_wait_alu 0xfffe
	s_xor_b32 s20, exec_lo, s20
; %bb.15:                               ;   in Loop: Header=BB3_14 Depth=2
	v_min_i32_e32 v43, v3, v43
                                        ; implicit-def: $vgpr1
; %bb.16:                               ;   in Loop: Header=BB3_14 Depth=2
	s_wait_alu 0xfffe
	s_and_not1_saveexec_b32 s20, s20
	s_cbranch_execz .LBB3_21
; %bb.17:                               ;   in Loop: Header=BB3_14 Depth=2
	v_add_nc_u32_e32 v5, -8, v7
	v_add_nc_u32_e32 v13, -2, v7
	;; [unrolled: 1-line block ×5, first 2 shown]
	v_lshlrev_b64_e32 v[8:9], 2, v[5:6]
	v_add_nc_u32_e32 v5, -4, v7
	v_add_nc_u32_e32 v15, -3, v7
	s_mov_b32 s21, -1
	s_wait_kmcnt 0x0
	s_delay_alu instid0(VALU_DEP_3)
	v_add_co_u32 v8, vcc_lo, s8, v8
	s_wait_alu 0xfffd
	v_add_co_ci_u32_e64 v9, null, s9, v9, vcc_lo
	global_load_b32 v3, v[8:9], off
	v_mul_lo_u32 v8, v1, 36
	v_lshlrev_b64_e32 v[9:10], 2, v[5:6]
	v_add_nc_u32_e32 v12, v23, v1
	v_add_nc_u32_e32 v5, -5, v7
	s_delay_alu instid0(VALU_DEP_3)
	v_add_co_u32 v9, vcc_lo, s8, v9
	v_add_nc_u32_e32 v1, v22, v8
	s_wait_alu 0xfffd
	v_add_co_ci_u32_e64 v10, null, s9, v10, vcc_lo
	s_and_not1_b32 vcc_lo, exec_lo, s1
	s_wait_loadcnt 0x0
	v_mul_f32_e32 v3, s2, v3
	ds_store_b8 v12, v36
	ds_store_b32 v1, v3
	s_wait_alu 0xfffe
	s_cbranch_vccnz .LBB3_19
; %bb.18:                               ;   in Loop: Header=BB3_14 Depth=2
	v_mov_b32_e32 v14, v6
	v_mov_b32_e32 v20, v6
	v_lshlrev_b64_e32 v[45:46], 2, v[5:6]
	v_mov_b32_e32 v12, v6
	v_mov_b32_e32 v18, v6
	v_lshlrev_b64_e32 v[47:48], 2, v[13:14]
	v_lshlrev_b64_e32 v[20:21], 2, v[19:20]
	v_mov_b32_e32 v16, v6
	v_add_co_u32 v45, vcc_lo, s8, v45
	v_lshlrev_b64_e32 v[49:50], 2, v[11:12]
	v_mov_b32_e32 v8, v6
	s_wait_alu 0xfffd
	v_add_co_ci_u32_e64 v46, null, s9, v46, vcc_lo
	v_add_co_u32 v47, vcc_lo, s8, v47
	v_lshlrev_b64_e32 v[51:52], 2, v[17:18]
	s_wait_alu 0xfffd
	v_add_co_ci_u32_e64 v48, null, s9, v48, vcc_lo
	v_add_co_u32 v20, vcc_lo, s8, v20
	v_lshlrev_b64_e32 v[53:54], 2, v[15:16]
	;; [unrolled: 4-line block ×3, first 2 shown]
	s_wait_alu 0xfffd
	v_add_co_ci_u32_e64 v50, null, s9, v50, vcc_lo
	v_add_co_u32 v51, vcc_lo, s8, v51
	s_wait_alu 0xfffd
	v_add_co_ci_u32_e64 v52, null, s9, v52, vcc_lo
	v_add_co_u32 v53, vcc_lo, s8, v53
	;; [unrolled: 3-line block ×3, first 2 shown]
	s_wait_alu 0xfffd
	v_add_co_ci_u32_e64 v56, null, s9, v56, vcc_lo
	s_clause 0x7
	global_load_b32 v3, v[45:46], off
	global_load_b32 v8, v[47:48], off
	;; [unrolled: 1-line block ×8, first 2 shown]
	s_mov_b32 s21, 0
	s_wait_loadcnt 0x6
	v_dual_mul_f32 v3, s2, v3 :: v_dual_mul_f32 v8, s2, v8
	s_wait_loadcnt 0x5
	v_mul_f32_e32 v12, s2, v12
	s_wait_loadcnt 0x4
	v_mul_f32_e32 v14, s2, v14
	;; [unrolled: 2-line block ×4, first 2 shown]
	s_wait_loadcnt 0x0
	v_dual_mul_f32 v20, s2, v20 :: v_dual_mul_f32 v21, s2, v21
	ds_store_2addr_b32 v1, v3, v8 offset0:1 offset1:2
	ds_store_2addr_b32 v1, v12, v21 offset0:3 offset1:4
	;; [unrolled: 1-line block ×4, first 2 shown]
.LBB3_19:                               ;   in Loop: Header=BB3_14 Depth=2
	s_wait_alu 0xfffe
	s_and_not1_b32 vcc_lo, exec_lo, s21
	s_wait_alu 0xfffe
	s_cbranch_vccnz .LBB3_21
; %bb.20:                               ;   in Loop: Header=BB3_14 Depth=2
	v_mov_b32_e32 v20, v6
	v_mov_b32_e32 v18, v6
	;; [unrolled: 1-line block ×4, first 2 shown]
	v_lshlrev_b64_e32 v[45:46], 2, v[5:6]
	v_lshlrev_b64_e32 v[19:20], 2, v[19:20]
	v_lshlrev_b64_e32 v[17:18], 2, v[17:18]
	v_mov_b32_e32 v12, v6
	v_lshlrev_b64_e32 v[15:16], 2, v[15:16]
	v_mov_b32_e32 v8, v6
	v_lshlrev_b64_e32 v[13:14], 2, v[13:14]
	v_add_co_u32 v19, vcc_lo, s8, v19
	s_wait_alu 0xfffd
	v_add_co_ci_u32_e64 v20, null, s9, v20, vcc_lo
	v_add_co_u32 v17, vcc_lo, s8, v17
	s_wait_alu 0xfffd
	v_add_co_ci_u32_e64 v18, null, s9, v18, vcc_lo
	v_add_co_u32 v45, vcc_lo, s8, v45
	v_lshlrev_b64_e32 v[11:12], 2, v[11:12]
	s_wait_alu 0xfffd
	v_add_co_ci_u32_e64 v46, null, s9, v46, vcc_lo
	v_add_co_u32 v15, vcc_lo, s8, v15
	v_lshlrev_b64_e32 v[47:48], 2, v[7:8]
	s_wait_alu 0xfffd
	v_add_co_ci_u32_e64 v16, null, s9, v16, vcc_lo
	v_add_co_u32 v13, vcc_lo, s8, v13
	s_wait_alu 0xfffd
	v_add_co_ci_u32_e64 v14, null, s9, v14, vcc_lo
	v_add_co_u32 v11, vcc_lo, s8, v11
	;; [unrolled: 3-line block ×3, first 2 shown]
	s_wait_alu 0xfffd
	v_add_co_ci_u32_e64 v48, null, s9, v48, vcc_lo
	s_clause 0x7
	global_load_b32 v3, v[19:20], off
	global_load_b32 v5, v[17:18], off
	;; [unrolled: 1-line block ×8, first 2 shown]
	s_wait_loadcnt 0x7
	v_mul_f32_e32 v3, s2, v3
	s_wait_loadcnt 0x5
	v_dual_mul_f32 v5, s2, v5 :: v_dual_mul_f32 v8, s2, v8
	s_wait_loadcnt 0x3
	v_dual_mul_f32 v10, s2, v15 :: v_dual_mul_f32 v13, s2, v13
	;; [unrolled: 2-line block ×3, first 2 shown]
	s_wait_loadcnt 0x0
	v_mul_f32_e32 v9, s2, v9
	ds_store_2addr_b32 v1, v3, v5 offset0:1 offset1:2
	ds_store_2addr_b32 v1, v8, v9 offset0:3 offset1:4
	;; [unrolled: 1-line block ×4, first 2 shown]
.LBB3_21:                               ;   in Loop: Header=BB3_14 Depth=2
	s_wait_alu 0xfffe
	s_or_b32 exec_lo, exec_lo, s20
	s_mov_b32 s20, -1
	s_and_saveexec_b32 s21, s0
	s_cbranch_execz .LBB3_13
; %bb.22:                               ;   in Loop: Header=BB3_14 Depth=2
	v_add_nc_u32_e32 v0, 64, v0
	v_add_nc_u32_e32 v7, 0x240, v7
	s_delay_alu instid0(VALU_DEP_2)
	v_cmp_ge_i32_e32 vcc_lo, v0, v24
	s_or_not1_b32 s20, vcc_lo, exec_lo
	s_branch .LBB3_13
.LBB3_23:                               ;   in Loop: Header=BB3_11 Depth=1
	s_or_b32 exec_lo, exec_lo, s7
.LBB3_24:                               ;   in Loop: Header=BB3_11 Depth=1
	s_wait_alu 0xfffe
	s_or_b32 exec_lo, exec_lo, s6
	s_delay_alu instid0(SALU_CYCLE_1)
	s_mov_b32 s6, exec_lo
	s_wait_loadcnt_dscnt 0x0
	global_inv scope:SCOPE_SE
	v_cmpx_lt_i32_e64 v2, v25
	s_cbranch_execz .LBB3_37
; %bb.25:                               ;   in Loop: Header=BB3_11 Depth=1
	v_mad_co_u64_u32 v[7:8], null, v2, 9, 8
	s_mov_b32 s7, 0
	s_branch .LBB3_27
.LBB3_26:                               ;   in Loop: Header=BB3_27 Depth=2
	s_wait_alu 0xfffe
	s_or_b32 exec_lo, exec_lo, s21
	s_delay_alu instid0(SALU_CYCLE_1)
	s_and_b32 s0, exec_lo, s20
	s_wait_alu 0xfffe
	s_or_b32 s7, s0, s7
	s_wait_alu 0xfffe
	s_and_not1_b32 exec_lo, exec_lo, s7
	s_cbranch_execz .LBB3_36
.LBB3_27:                               ;   Parent Loop BB3_11 Depth=1
                                        ; =>  This Inner Loop Header: Depth=2
	v_ashrrev_i32_e32 v3, 31, v2
	s_mov_b32 s20, exec_lo
	s_delay_alu instid0(VALU_DEP_1) | instskip(NEXT) | instid1(VALU_DEP_1)
	v_lshlrev_b64_e32 v[8:9], 2, v[2:3]
	v_add_co_u32 v8, vcc_lo, s14, v8
	s_wait_alu 0xfffd
	s_delay_alu instid0(VALU_DEP_2) | instskip(SKIP_3) | instid1(VALU_DEP_1)
	v_add_co_ci_u32_e64 v9, null, s15, v9, vcc_lo
	global_load_b32 v1, v[8:9], off
	s_wait_loadcnt 0x0
	v_subrev_nc_u32_e32 v1, s5, v1
	v_sub_nc_u32_e32 v3, v1, v44
	s_delay_alu instid0(VALU_DEP_1)
	v_cmp_gt_u32_e64 s0, 64, v3
	v_cmpx_lt_u32_e32 63, v3
	s_wait_alu 0xfffe
	s_xor_b32 s20, exec_lo, s20
; %bb.28:                               ;   in Loop: Header=BB3_27 Depth=2
	v_min_i32_e32 v43, v1, v43
                                        ; implicit-def: $vgpr3
; %bb.29:                               ;   in Loop: Header=BB3_27 Depth=2
	s_wait_alu 0xfffe
	s_and_not1_saveexec_b32 s20, s20
	s_cbranch_execz .LBB3_34
; %bb.30:                               ;   in Loop: Header=BB3_27 Depth=2
	v_add_nc_u32_e32 v5, -8, v7
	v_mul_lo_u32 v1, v3, 36
	v_add_nc_u32_e32 v3, v23, v3
	v_add_nc_u32_e32 v12, -2, v7
	v_add_nc_u32_e32 v20, -7, v7
	v_lshlrev_b64_e32 v[8:9], 2, v[5:6]
	v_add_nc_u32_e32 v5, -4, v7
	v_add_nc_u32_e32 v10, -1, v7
	;; [unrolled: 1-line block ×3, first 2 shown]
	v_add_nc_u32_e32 v1, v22, v1
	v_add_nc_u32_e32 v16, -3, v7
	s_wait_kmcnt 0x0
	v_add_co_u32 v8, vcc_lo, s12, v8
	s_wait_alu 0xfffd
	v_add_co_ci_u32_e64 v9, null, s13, v9, vcc_lo
	v_lshlrev_b64_e32 v[14:15], 2, v[5:6]
	v_add_nc_u32_e32 v5, -5, v7
	s_mov_b32 s21, -1
	global_load_b32 v11, v[8:9], off
	ds_load_2addr_b32 v[8:9], v1 offset1:1
	v_add_co_u32 v14, vcc_lo, s12, v14
	s_wait_alu 0xfffd
	v_add_co_ci_u32_e64 v15, null, s13, v15, vcc_lo
	s_and_not1_b32 vcc_lo, exec_lo, s1
	s_wait_loadcnt_dscnt 0x0
	v_fma_f32 v8, s24, v11, v8
	ds_store_b8 v3, v36
	ds_store_b32 v1, v8
	s_wait_alu 0xfffe
	s_cbranch_vccnz .LBB3_32
; %bb.31:                               ;   in Loop: Header=BB3_27 Depth=2
	v_dual_mov_b32 v13, v6 :: v_dual_mov_b32 v8, v6
	v_mov_b32_e32 v21, v6
	v_lshlrev_b64_e32 v[45:46], 2, v[5:6]
	v_mov_b32_e32 v11, v6
	s_delay_alu instid0(VALU_DEP_4)
	v_lshlrev_b64_e32 v[47:48], 2, v[12:13]
	v_mov_b32_e32 v19, v6
	v_lshlrev_b64_e32 v[49:50], 2, v[20:21]
	v_mov_b32_e32 v17, v6
	v_add_co_u32 v45, vcc_lo, s12, v45
	v_lshlrev_b64_e32 v[51:52], 2, v[10:11]
	s_wait_alu 0xfffd
	v_add_co_ci_u32_e64 v46, null, s13, v46, vcc_lo
	v_add_co_u32 v47, vcc_lo, s12, v47
	v_lshlrev_b64_e32 v[53:54], 2, v[18:19]
	s_wait_alu 0xfffd
	v_add_co_ci_u32_e64 v48, null, s13, v48, vcc_lo
	;; [unrolled: 4-line block ×4, first 2 shown]
	v_add_co_u32 v53, vcc_lo, s12, v53
	s_wait_alu 0xfffd
	v_add_co_ci_u32_e64 v54, null, s13, v54, vcc_lo
	v_add_co_u32 v55, vcc_lo, s12, v55
	global_load_b32 v3, v[14:15], off
	s_wait_alu 0xfffd
	v_add_co_ci_u32_e64 v56, null, s13, v56, vcc_lo
	v_add_co_u32 v57, vcc_lo, s12, v57
	s_wait_alu 0xfffd
	v_add_co_ci_u32_e64 v58, null, s13, v58, vcc_lo
	s_clause 0x6
	global_load_b32 v8, v[45:46], off
	global_load_b32 v11, v[47:48], off
	;; [unrolled: 1-line block ×7, first 2 shown]
	ds_load_2addr_b32 v[45:46], v1 offset0:4 offset1:5
	ds_load_2addr_b32 v[47:48], v1 offset0:2 offset1:3
	;; [unrolled: 1-line block ×3, first 2 shown]
	ds_load_b32 v52, v1 offset:32
	s_mov_b32 s21, 0
	s_wait_loadcnt_dscnt 0x703
	v_fma_f32 v3, s24, v3, v45
	s_wait_loadcnt 0x6
	v_fma_f32 v8, s24, v8, v9
	s_wait_loadcnt_dscnt 0x502
	v_fma_f32 v11, s24, v11, v47
	s_wait_loadcnt 0x4
	v_fmac_f32_e32 v48, s24, v13
	s_wait_loadcnt 0x3
	v_fmac_f32_e32 v46, s24, v17
	s_wait_loadcnt_dscnt 0x201
	v_fma_f32 v13, s24, v19, v49
	s_wait_loadcnt 0x1
	v_fmac_f32_e32 v50, s24, v21
	s_wait_loadcnt_dscnt 0x0
	v_fmac_f32_e32 v52, s24, v51
	ds_store_2addr_b32 v1, v8, v11 offset0:1 offset1:2
	ds_store_2addr_b32 v1, v48, v3 offset0:3 offset1:4
	;; [unrolled: 1-line block ×4, first 2 shown]
.LBB3_32:                               ;   in Loop: Header=BB3_27 Depth=2
	s_wait_alu 0xfffe
	s_and_not1_b32 vcc_lo, exec_lo, s21
	s_wait_alu 0xfffe
	s_cbranch_vccnz .LBB3_34
; %bb.33:                               ;   in Loop: Header=BB3_27 Depth=2
	v_dual_mov_b32 v21, v6 :: v_dual_mov_b32 v8, v6
	v_mov_b32_e32 v19, v6
	v_mov_b32_e32 v17, v6
	v_lshlrev_b64_e32 v[45:46], 2, v[5:6]
	s_delay_alu instid0(VALU_DEP_4)
	v_lshlrev_b64_e32 v[20:21], 2, v[20:21]
	v_mov_b32_e32 v13, v6
	v_lshlrev_b64_e32 v[18:19], 2, v[18:19]
	v_lshlrev_b64_e32 v[16:17], 2, v[16:17]
	v_mov_b32_e32 v11, v6
	global_load_b32 v3, v[14:15], off
	v_add_co_u32 v20, vcc_lo, s12, v20
	s_wait_alu 0xfffd
	v_add_co_ci_u32_e64 v21, null, s13, v21, vcc_lo
	v_add_co_u32 v18, vcc_lo, s12, v18
	s_wait_alu 0xfffd
	v_add_co_ci_u32_e64 v19, null, s13, v19, vcc_lo
	v_add_co_u32 v45, vcc_lo, s12, v45
	v_lshlrev_b64_e32 v[12:13], 2, v[12:13]
	s_wait_alu 0xfffd
	v_add_co_ci_u32_e64 v46, null, s13, v46, vcc_lo
	v_add_co_u32 v14, vcc_lo, s12, v16
	v_lshlrev_b64_e32 v[10:11], 2, v[10:11]
	s_wait_alu 0xfffd
	v_add_co_ci_u32_e64 v15, null, s13, v17, vcc_lo
	v_lshlrev_b64_e32 v[16:17], 2, v[7:8]
	v_add_co_u32 v12, vcc_lo, s12, v12
	s_wait_alu 0xfffd
	v_add_co_ci_u32_e64 v13, null, s13, v13, vcc_lo
	v_add_co_u32 v10, vcc_lo, s12, v10
	s_wait_alu 0xfffd
	v_add_co_ci_u32_e64 v11, null, s13, v11, vcc_lo
	;; [unrolled: 3-line block ×3, first 2 shown]
	s_clause 0x6
	global_load_b32 v5, v[20:21], off
	global_load_b32 v8, v[18:19], off
	;; [unrolled: 1-line block ×7, first 2 shown]
	ds_load_2addr_b32 v[10:11], v1 offset0:4 offset1:5
	ds_load_2addr_b32 v[12:13], v1 offset0:2 offset1:3
	;; [unrolled: 1-line block ×3, first 2 shown]
	ds_load_b32 v17, v1 offset:32
	s_wait_loadcnt_dscnt 0x703
	v_fma_f32 v3, s24, v3, v10
	s_wait_loadcnt 0x6
	v_fmac_f32_e32 v9, s24, v5
	s_wait_loadcnt_dscnt 0x502
	v_fma_f32 v5, s24, v8, v12
	s_wait_loadcnt 0x4
	v_fmac_f32_e32 v13, s24, v18
	s_wait_loadcnt 0x3
	v_fmac_f32_e32 v11, s24, v19
	s_wait_loadcnt_dscnt 0x201
	v_fma_f32 v8, s24, v20, v14
	s_wait_loadcnt 0x1
	v_fmac_f32_e32 v15, s24, v21
	s_wait_loadcnt_dscnt 0x0
	v_fmac_f32_e32 v17, s24, v16
	ds_store_2addr_b32 v1, v9, v5 offset0:1 offset1:2
	ds_store_2addr_b32 v1, v13, v3 offset0:3 offset1:4
	;; [unrolled: 1-line block ×4, first 2 shown]
.LBB3_34:                               ;   in Loop: Header=BB3_27 Depth=2
	s_wait_alu 0xfffe
	s_or_b32 exec_lo, exec_lo, s20
	s_mov_b32 s20, -1
	s_and_saveexec_b32 s21, s0
	s_cbranch_execz .LBB3_26
; %bb.35:                               ;   in Loop: Header=BB3_27 Depth=2
	v_add_nc_u32_e32 v2, 64, v2
	v_add_nc_u32_e32 v7, 0x240, v7
	s_delay_alu instid0(VALU_DEP_2)
	v_cmp_ge_i32_e32 vcc_lo, v2, v25
	s_or_not1_b32 s20, vcc_lo, exec_lo
	s_branch .LBB3_26
.LBB3_36:                               ;   in Loop: Header=BB3_11 Depth=1
	s_or_b32 exec_lo, exec_lo, s7
.LBB3_37:                               ;   in Loop: Header=BB3_11 Depth=1
	s_wait_alu 0xfffe
	s_or_b32 exec_lo, exec_lo, s6
	s_wait_loadcnt_dscnt 0x0
	global_inv scope:SCOPE_SE
	ds_load_u8 v1, v35
	s_mov_b32 s6, exec_lo
	s_wait_dscnt 0x0
	v_and_b32_e32 v3, 1, v1
	v_cmp_ne_u16_e32 vcc_lo, 0, v1
	s_delay_alu instid0(VALU_DEP_2)
	v_cmpx_eq_u32_e32 1, v3
	s_cbranch_execz .LBB3_10
; %bb.38:                               ;   in Loop: Header=BB3_11 Depth=1
	s_wait_alu 0xfffd
	v_dual_mov_b32 v12, v6 :: v_dual_and_b32 v1, vcc_lo, v4
	ds_load_2addr_b32 v[9:10], v27 offset1:4
	v_mov_b32_e32 v14, v6
	v_mov_b32_e32 v20, v6
	v_bcnt_u32_b32 v1, v1, 0
	v_mov_b32_e32 v45, v6
	v_mov_b32_e32 v47, v6
	s_delay_alu instid0(VALU_DEP_3) | instskip(SKIP_1) | instid1(VALU_DEP_2)
	v_add3_u32 v7, v26, v1, -1
	v_add_nc_u32_e32 v1, v28, v44
	v_ashrrev_i32_e32 v8, 31, v7
	v_lshl_add_u32 v5, v7, 3, v7
	v_mov_b32_e32 v16, v6
	s_delay_alu instid0(VALU_DEP_3) | instskip(NEXT) | instid1(VALU_DEP_3)
	v_lshlrev_b64_e32 v[7:8], 2, v[7:8]
	v_add_nc_u32_e32 v11, 1, v5
	v_add_nc_u32_e32 v13, 2, v5
	v_lshlrev_b64_e32 v[17:18], 2, v[5:6]
	v_add_nc_u32_e32 v19, 4, v5
	v_add_nc_u32_e32 v15, 3, v5
	s_wait_kmcnt 0x0
	v_add_co_u32 v7, s0, s16, v7
	v_lshlrev_b64_e32 v[11:12], 2, v[11:12]
	s_wait_alu 0xf1ff
	v_add_co_ci_u32_e64 v8, null, s17, v8, s0
	v_lshlrev_b64_e32 v[13:14], 2, v[13:14]
	v_add_co_u32 v17, s0, s18, v17
	s_wait_alu 0xf1ff
	v_add_co_ci_u32_e64 v18, null, s19, v18, s0
	global_store_b32 v[7:8], v1, off
	v_add_co_u32 v7, s0, s18, v11
	s_wait_alu 0xf1ff
	v_add_co_ci_u32_e64 v8, null, s19, v12, s0
	v_add_co_u32 v11, s0, s18, v13
	ds_load_b32 v1, v37
	ds_load_b32 v3, v38
	;; [unrolled: 1-line block ×6, first 2 shown]
	ds_load_b32 v53, v27 offset:32
	s_wait_alu 0xf1ff
	v_add_co_ci_u32_e64 v12, null, s19, v14, s0
	v_lshlrev_b64_e32 v[13:14], 2, v[19:20]
	v_add_nc_u32_e32 v19, 5, v5
	v_lshlrev_b64_e32 v[15:16], 2, v[15:16]
	v_add_nc_u32_e32 v44, 6, v5
	v_add_nc_u32_e32 v46, 7, v5
	;; [unrolled: 1-line block ×3, first 2 shown]
	v_lshlrev_b64_e32 v[19:20], 2, v[19:20]
	v_add_co_u32 v15, s0, s18, v15
	v_lshlrev_b64_e32 v[44:45], 2, v[44:45]
	s_wait_alu 0xf1ff
	v_add_co_ci_u32_e64 v16, null, s19, v16, s0
	v_add_co_u32 v13, s0, s18, v13
	v_lshlrev_b64_e32 v[46:47], 2, v[46:47]
	s_wait_alu 0xf1ff
	v_add_co_ci_u32_e64 v14, null, s19, v14, s0
	;; [unrolled: 4-line block ×3, first 2 shown]
	v_add_co_u32 v44, s0, s18, v44
	s_wait_alu 0xf1ff
	v_add_co_ci_u32_e64 v45, null, s19, v45, s0
	v_add_co_u32 v46, s0, s18, v46
	s_wait_alu 0xf1ff
	v_add_co_ci_u32_e64 v47, null, s19, v47, s0
	;; [unrolled: 3-line block ×3, first 2 shown]
	s_wait_dscnt 0x7
	global_store_b32 v[17:18], v9, off
	s_wait_dscnt 0x6
	global_store_b32 v[7:8], v1, off
	;; [unrolled: 2-line block ×3, first 2 shown]
	s_wait_dscnt 0x4
	s_clause 0x1
	global_store_b32 v[15:16], v21, off
	global_store_b32 v[13:14], v10, off
	s_wait_dscnt 0x3
	global_store_b32 v[19:20], v50, off
	s_wait_dscnt 0x2
	;; [unrolled: 2-line block ×4, first 2 shown]
	global_store_b32 v[48:49], v53, off
	s_branch .LBB3_10
.LBB3_39:
	s_endpgm
	.section	.rodata,"a",@progbits
	.p2align	6, 0x0
	.amdhsa_kernel _ZN9rocsparseL39bsrgeam_wf_per_row_multipass_2_3_kernelILj256ELj3ELj64EfEEv20rocsparse_direction_iiiNS_24const_host_device_scalarIT2_EEPKiS6_PKS3_S4_S6_S6_S8_S6_PiPS3_21rocsparse_index_base_SB_SB_b
		.amdhsa_group_segment_fixed_size 9472
		.amdhsa_private_segment_fixed_size 0
		.amdhsa_kernarg_size 120
		.amdhsa_user_sgpr_count 2
		.amdhsa_user_sgpr_dispatch_ptr 0
		.amdhsa_user_sgpr_queue_ptr 0
		.amdhsa_user_sgpr_kernarg_segment_ptr 1
		.amdhsa_user_sgpr_dispatch_id 0
		.amdhsa_user_sgpr_private_segment_size 0
		.amdhsa_wavefront_size32 1
		.amdhsa_uses_dynamic_stack 0
		.amdhsa_enable_private_segment 0
		.amdhsa_system_sgpr_workgroup_id_x 1
		.amdhsa_system_sgpr_workgroup_id_y 0
		.amdhsa_system_sgpr_workgroup_id_z 0
		.amdhsa_system_sgpr_workgroup_info 0
		.amdhsa_system_vgpr_workitem_id 0
		.amdhsa_next_free_vgpr 59
		.amdhsa_next_free_sgpr 26
		.amdhsa_reserve_vcc 1
		.amdhsa_float_round_mode_32 0
		.amdhsa_float_round_mode_16_64 0
		.amdhsa_float_denorm_mode_32 3
		.amdhsa_float_denorm_mode_16_64 3
		.amdhsa_fp16_overflow 0
		.amdhsa_workgroup_processor_mode 1
		.amdhsa_memory_ordered 1
		.amdhsa_forward_progress 1
		.amdhsa_inst_pref_size 32
		.amdhsa_round_robin_scheduling 0
		.amdhsa_exception_fp_ieee_invalid_op 0
		.amdhsa_exception_fp_denorm_src 0
		.amdhsa_exception_fp_ieee_div_zero 0
		.amdhsa_exception_fp_ieee_overflow 0
		.amdhsa_exception_fp_ieee_underflow 0
		.amdhsa_exception_fp_ieee_inexact 0
		.amdhsa_exception_int_div_zero 0
	.end_amdhsa_kernel
	.section	.text._ZN9rocsparseL39bsrgeam_wf_per_row_multipass_2_3_kernelILj256ELj3ELj64EfEEv20rocsparse_direction_iiiNS_24const_host_device_scalarIT2_EEPKiS6_PKS3_S4_S6_S6_S8_S6_PiPS3_21rocsparse_index_base_SB_SB_b,"axG",@progbits,_ZN9rocsparseL39bsrgeam_wf_per_row_multipass_2_3_kernelILj256ELj3ELj64EfEEv20rocsparse_direction_iiiNS_24const_host_device_scalarIT2_EEPKiS6_PKS3_S4_S6_S6_S8_S6_PiPS3_21rocsparse_index_base_SB_SB_b,comdat
.Lfunc_end3:
	.size	_ZN9rocsparseL39bsrgeam_wf_per_row_multipass_2_3_kernelILj256ELj3ELj64EfEEv20rocsparse_direction_iiiNS_24const_host_device_scalarIT2_EEPKiS6_PKS3_S4_S6_S6_S8_S6_PiPS3_21rocsparse_index_base_SB_SB_b, .Lfunc_end3-_ZN9rocsparseL39bsrgeam_wf_per_row_multipass_2_3_kernelILj256ELj3ELj64EfEEv20rocsparse_direction_iiiNS_24const_host_device_scalarIT2_EEPKiS6_PKS3_S4_S6_S6_S8_S6_PiPS3_21rocsparse_index_base_SB_SB_b
                                        ; -- End function
	.set _ZN9rocsparseL39bsrgeam_wf_per_row_multipass_2_3_kernelILj256ELj3ELj64EfEEv20rocsparse_direction_iiiNS_24const_host_device_scalarIT2_EEPKiS6_PKS3_S4_S6_S6_S8_S6_PiPS3_21rocsparse_index_base_SB_SB_b.num_vgpr, 59
	.set _ZN9rocsparseL39bsrgeam_wf_per_row_multipass_2_3_kernelILj256ELj3ELj64EfEEv20rocsparse_direction_iiiNS_24const_host_device_scalarIT2_EEPKiS6_PKS3_S4_S6_S6_S8_S6_PiPS3_21rocsparse_index_base_SB_SB_b.num_agpr, 0
	.set _ZN9rocsparseL39bsrgeam_wf_per_row_multipass_2_3_kernelILj256ELj3ELj64EfEEv20rocsparse_direction_iiiNS_24const_host_device_scalarIT2_EEPKiS6_PKS3_S4_S6_S6_S8_S6_PiPS3_21rocsparse_index_base_SB_SB_b.numbered_sgpr, 26
	.set _ZN9rocsparseL39bsrgeam_wf_per_row_multipass_2_3_kernelILj256ELj3ELj64EfEEv20rocsparse_direction_iiiNS_24const_host_device_scalarIT2_EEPKiS6_PKS3_S4_S6_S6_S8_S6_PiPS3_21rocsparse_index_base_SB_SB_b.num_named_barrier, 0
	.set _ZN9rocsparseL39bsrgeam_wf_per_row_multipass_2_3_kernelILj256ELj3ELj64EfEEv20rocsparse_direction_iiiNS_24const_host_device_scalarIT2_EEPKiS6_PKS3_S4_S6_S6_S8_S6_PiPS3_21rocsparse_index_base_SB_SB_b.private_seg_size, 0
	.set _ZN9rocsparseL39bsrgeam_wf_per_row_multipass_2_3_kernelILj256ELj3ELj64EfEEv20rocsparse_direction_iiiNS_24const_host_device_scalarIT2_EEPKiS6_PKS3_S4_S6_S6_S8_S6_PiPS3_21rocsparse_index_base_SB_SB_b.uses_vcc, 1
	.set _ZN9rocsparseL39bsrgeam_wf_per_row_multipass_2_3_kernelILj256ELj3ELj64EfEEv20rocsparse_direction_iiiNS_24const_host_device_scalarIT2_EEPKiS6_PKS3_S4_S6_S6_S8_S6_PiPS3_21rocsparse_index_base_SB_SB_b.uses_flat_scratch, 0
	.set _ZN9rocsparseL39bsrgeam_wf_per_row_multipass_2_3_kernelILj256ELj3ELj64EfEEv20rocsparse_direction_iiiNS_24const_host_device_scalarIT2_EEPKiS6_PKS3_S4_S6_S6_S8_S6_PiPS3_21rocsparse_index_base_SB_SB_b.has_dyn_sized_stack, 0
	.set _ZN9rocsparseL39bsrgeam_wf_per_row_multipass_2_3_kernelILj256ELj3ELj64EfEEv20rocsparse_direction_iiiNS_24const_host_device_scalarIT2_EEPKiS6_PKS3_S4_S6_S6_S8_S6_PiPS3_21rocsparse_index_base_SB_SB_b.has_recursion, 0
	.set _ZN9rocsparseL39bsrgeam_wf_per_row_multipass_2_3_kernelILj256ELj3ELj64EfEEv20rocsparse_direction_iiiNS_24const_host_device_scalarIT2_EEPKiS6_PKS3_S4_S6_S6_S8_S6_PiPS3_21rocsparse_index_base_SB_SB_b.has_indirect_call, 0
	.section	.AMDGPU.csdata,"",@progbits
; Kernel info:
; codeLenInByte = 4044
; TotalNumSgprs: 28
; NumVgprs: 59
; ScratchSize: 0
; MemoryBound: 0
; FloatMode: 240
; IeeeMode: 1
; LDSByteSize: 9472 bytes/workgroup (compile time only)
; SGPRBlocks: 0
; VGPRBlocks: 7
; NumSGPRsForWavesPerEU: 28
; NumVGPRsForWavesPerEU: 59
; Occupancy: 16
; WaveLimiterHint : 1
; COMPUTE_PGM_RSRC2:SCRATCH_EN: 0
; COMPUTE_PGM_RSRC2:USER_SGPR: 2
; COMPUTE_PGM_RSRC2:TRAP_HANDLER: 0
; COMPUTE_PGM_RSRC2:TGID_X_EN: 1
; COMPUTE_PGM_RSRC2:TGID_Y_EN: 0
; COMPUTE_PGM_RSRC2:TGID_Z_EN: 0
; COMPUTE_PGM_RSRC2:TIDIG_COMP_CNT: 0
	.section	.text._ZN9rocsparseL35bsrgeam_wf_per_row_multipass_kernelILj64ELj4EfEEv20rocsparse_direction_iiiNS_24const_host_device_scalarIT1_EEPKiS6_PKS3_S4_S6_S6_S8_S6_PiPS3_21rocsparse_index_base_SB_SB_b,"axG",@progbits,_ZN9rocsparseL35bsrgeam_wf_per_row_multipass_kernelILj64ELj4EfEEv20rocsparse_direction_iiiNS_24const_host_device_scalarIT1_EEPKiS6_PKS3_S4_S6_S6_S8_S6_PiPS3_21rocsparse_index_base_SB_SB_b,comdat
	.globl	_ZN9rocsparseL35bsrgeam_wf_per_row_multipass_kernelILj64ELj4EfEEv20rocsparse_direction_iiiNS_24const_host_device_scalarIT1_EEPKiS6_PKS3_S4_S6_S6_S8_S6_PiPS3_21rocsparse_index_base_SB_SB_b ; -- Begin function _ZN9rocsparseL35bsrgeam_wf_per_row_multipass_kernelILj64ELj4EfEEv20rocsparse_direction_iiiNS_24const_host_device_scalarIT1_EEPKiS6_PKS3_S4_S6_S6_S8_S6_PiPS3_21rocsparse_index_base_SB_SB_b
	.p2align	8
	.type	_ZN9rocsparseL35bsrgeam_wf_per_row_multipass_kernelILj64ELj4EfEEv20rocsparse_direction_iiiNS_24const_host_device_scalarIT1_EEPKiS6_PKS3_S4_S6_S6_S8_S6_PiPS3_21rocsparse_index_base_SB_SB_b,@function
_ZN9rocsparseL35bsrgeam_wf_per_row_multipass_kernelILj64ELj4EfEEv20rocsparse_direction_iiiNS_24const_host_device_scalarIT1_EEPKiS6_PKS3_S4_S6_S6_S8_S6_PiPS3_21rocsparse_index_base_SB_SB_b: ; @_ZN9rocsparseL35bsrgeam_wf_per_row_multipass_kernelILj64ELj4EfEEv20rocsparse_direction_iiiNS_24const_host_device_scalarIT1_EEPKiS6_PKS3_S4_S6_S6_S8_S6_PiPS3_21rocsparse_index_base_SB_SB_b
; %bb.0:
	s_clause 0x2
	s_load_b128 s[4:7], s[0:1], 0x68
	s_load_b64 s[16:17], s[0:1], 0x10
	s_load_b64 s[18:19], s[0:1], 0x30
	s_wait_kmcnt 0x0
	s_bitcmp1_b32 s7, 0
	s_cselect_b32 s2, -1, 0
	s_delay_alu instid0(SALU_CYCLE_1)
	s_and_b32 vcc_lo, exec_lo, s2
	s_xor_b32 s2, s2, -1
	s_cbranch_vccnz .LBB4_2
; %bb.1:
	s_load_b32 s16, s[16:17], 0x0
.LBB4_2:
	s_load_b64 s[12:13], s[0:1], 0x18
	s_and_not1_b32 vcc_lo, exec_lo, s2
	s_cbranch_vccnz .LBB4_4
; %bb.3:
	s_load_b32 s18, s[18:19], 0x0
.LBB4_4:
	s_load_b128 s[8:11], s[0:1], 0x0
	v_lshrrev_b32_e32 v9, 4, v0
	v_dual_mov_b32 v14, 0 :: v_dual_mov_b32 v1, 0
	s_delay_alu instid0(VALU_DEP_2) | instskip(NEXT) | instid1(VALU_DEP_1)
	v_lshl_or_b32 v6, ttmp9, 2, v9
	v_ashrrev_i32_e32 v7, 31, v6
	s_wait_kmcnt 0x0
	v_cmp_gt_i32_e64 s2, s9, v6
	v_cmp_le_i32_e32 vcc_lo, s9, v6
	s_and_saveexec_b32 s7, s2
	s_cbranch_execz .LBB4_6
; %bb.5:
	v_lshlrev_b64_e32 v[1:2], 2, v[6:7]
	s_delay_alu instid0(VALU_DEP_1) | instskip(NEXT) | instid1(VALU_DEP_1)
	v_add_co_u32 v1, s3, s12, v1
	v_add_co_ci_u32_e64 v2, null, s13, v2, s3
	global_load_b32 v1, v[1:2], off
	s_wait_loadcnt 0x0
	v_subrev_nc_u32_e32 v1, s4, v1
.LBB4_6:
	s_or_b32 exec_lo, exec_lo, s7
	s_load_b64 s[14:15], s[0:1], 0x38
	s_and_saveexec_b32 s7, s2
	s_cbranch_execz .LBB4_8
; %bb.7:
	v_lshlrev_b64_e32 v[2:3], 2, v[6:7]
	s_delay_alu instid0(VALU_DEP_1) | instskip(SKIP_1) | instid1(VALU_DEP_2)
	v_add_co_u32 v2, s3, s12, v2
	s_wait_alu 0xf1ff
	v_add_co_ci_u32_e64 v3, null, s13, v3, s3
	global_load_b32 v2, v[2:3], off offset:4
	s_wait_loadcnt 0x0
	v_subrev_nc_u32_e32 v14, s4, v2
.LBB4_8:
	s_or_b32 exec_lo, exec_lo, s7
	v_mov_b32_e32 v15, 0
	v_mov_b32_e32 v3, 0
	s_and_saveexec_b32 s7, s2
	s_cbranch_execz .LBB4_10
; %bb.9:
	v_lshlrev_b64_e32 v[2:3], 2, v[6:7]
	s_wait_kmcnt 0x0
	s_delay_alu instid0(VALU_DEP_1) | instskip(SKIP_1) | instid1(VALU_DEP_2)
	v_add_co_u32 v2, s3, s14, v2
	s_wait_alu 0xf1ff
	v_add_co_ci_u32_e64 v3, null, s15, v3, s3
	global_load_b32 v2, v[2:3], off
	s_wait_loadcnt 0x0
	v_subrev_nc_u32_e32 v3, s5, v2
.LBB4_10:
	s_or_b32 exec_lo, exec_lo, s7
	s_and_saveexec_b32 s7, s2
	s_cbranch_execz .LBB4_12
; %bb.11:
	v_lshlrev_b64_e32 v[4:5], 2, v[6:7]
	s_wait_kmcnt 0x0
	s_delay_alu instid0(VALU_DEP_1) | instskip(SKIP_1) | instid1(VALU_DEP_2)
	v_add_co_u32 v4, s3, s14, v4
	s_wait_alu 0xf1ff
	v_add_co_ci_u32_e64 v5, null, s15, v5, s3
	global_load_b32 v2, v[4:5], off offset:4
	s_wait_loadcnt 0x0
	v_subrev_nc_u32_e32 v15, s5, v2
.LBB4_12:
	s_or_b32 exec_lo, exec_lo, s7
	s_load_b64 s[20:21], s[0:1], 0x20
	v_mov_b32_e32 v5, 0
	s_and_saveexec_b32 s3, s2
	s_cbranch_execz .LBB4_14
; %bb.13:
	s_load_b64 s[12:13], s[0:1], 0x50
	v_lshlrev_b64_e32 v[4:5], 2, v[6:7]
	s_wait_kmcnt 0x0
	s_delay_alu instid0(VALU_DEP_1) | instskip(SKIP_1) | instid1(VALU_DEP_2)
	v_add_co_u32 v4, s2, s12, v4
	s_wait_alu 0xf1ff
	v_add_co_ci_u32_e64 v5, null, s13, v5, s2
	global_load_b32 v2, v[4:5], off
	s_wait_loadcnt 0x0
	v_subrev_nc_u32_e32 v5, s6, v2
.LBB4_14:
	s_wait_alu 0xfffe
	s_or_b32 exec_lo, exec_lo, s3
	s_load_b64 s[22:23], s[0:1], 0x40
	v_mov_b32_e32 v2, s10
	s_mov_b32 s3, exec_lo
	v_cmpx_lt_i32_e64 v1, v14
	s_cbranch_execz .LBB4_16
; %bb.15:
	v_ashrrev_i32_e32 v2, 31, v1
	s_delay_alu instid0(VALU_DEP_1) | instskip(SKIP_1) | instid1(VALU_DEP_1)
	v_lshlrev_b64_e32 v[6:7], 2, v[1:2]
	s_wait_kmcnt 0x0
	v_add_co_u32 v6, s2, s20, v6
	s_wait_alu 0xf1ff
	s_delay_alu instid0(VALU_DEP_2)
	v_add_co_ci_u32_e64 v7, null, s21, v7, s2
	global_load_b32 v2, v[6:7], off
	s_wait_loadcnt 0x0
	v_subrev_nc_u32_e32 v2, s4, v2
.LBB4_16:
	s_wait_alu 0xfffe
	s_or_b32 exec_lo, exec_lo, s3
	v_mov_b32_e32 v4, s10
	s_mov_b32 s3, exec_lo
	v_cmpx_lt_i32_e64 v3, v15
	s_cbranch_execz .LBB4_18
; %bb.17:
	v_ashrrev_i32_e32 v4, 31, v3
	s_delay_alu instid0(VALU_DEP_1) | instskip(SKIP_1) | instid1(VALU_DEP_1)
	v_lshlrev_b64_e32 v[6:7], 2, v[3:4]
	s_wait_kmcnt 0x0
	v_add_co_u32 v6, s2, s22, v6
	s_wait_alu 0xf1ff
	s_delay_alu instid0(VALU_DEP_2)
	v_add_co_ci_u32_e64 v7, null, s23, v7, s2
	global_load_b32 v4, v[6:7], off
	s_wait_loadcnt 0x0
	v_subrev_nc_u32_e32 v4, s5, v4
.LBB4_18:
	s_wait_alu 0xfffe
	s_or_b32 exec_lo, exec_lo, s3
	v_cndmask_b32_e64 v7, 0, 1, vcc_lo
	v_lshlrev_b32_e32 v6, 2, v9
	v_mov_b32_e32 v16, 0
	ds_store_b32 v6, v7 offset:256
	s_wait_dscnt 0x0
	s_barrier_signal -1
	s_barrier_wait -1
	global_inv scope:SCOPE_SE
	ds_load_b32 v7, v16 offset:256
	s_wait_dscnt 0x0
	v_cmp_lt_u32_e32 vcc_lo, 3, v7
	s_cbranch_vccnz .LBB4_58
; %bb.19:
	s_cmp_lg_u32 s8, 0
	s_wait_kmcnt 0x0
	s_clause 0x2
	s_load_b128 s[12:15], s[0:1], 0x58
	s_load_b64 s[24:25], s[0:1], 0x28
	s_load_b64 s[26:27], s[0:1], 0x48
	s_cselect_b32 s7, -1, 0
	s_cmp_eq_u32 s8, 0
	v_dual_mov_b32 v24, 1 :: v_dual_and_b32 v7, 3, v0
	v_bfe_u32 v8, v0, 2, 2
	v_min_i32_e32 v25, v4, v2
	s_cselect_b32 vcc_lo, -1, 0
	v_and_b32_e32 v2, 48, v0
	v_or_b32_e32 v17, 0x100, v6
	v_lshl_or_b32 v18, v9, 2, 0x110
	v_lshlrev_b32_e32 v6, 4, v8
	v_lshlrev_b32_e32 v9, 2, v7
	;; [unrolled: 1-line block ×6, first 2 shown]
	v_max_i32_e32 v4, v8, v7
	v_or3_b32 v20, v2, v6, v9
	s_wait_alu 0xfffe
	v_cndmask_b32_e32 v9, v7, v8, vcc_lo
	v_or3_b32 v21, v2, v10, v11
	v_cmp_gt_u32_e64 s1, 2, v0
	v_cmp_gt_i32_e64 s0, s11, v4
	v_cmp_eq_u32_e64 s2, 0, v0
	v_cndmask_b32_e32 v0, v8, v7, vcc_lo
	v_or_b32_e32 v22, 0x100, v19
	v_cndmask_b32_e32 v23, v20, v21, vcc_lo
	s_mul_i32 s8, s11, s11
	s_branch .LBB4_21
.LBB4_20:                               ;   in Loop: Header=BB4_21 Depth=1
	s_wait_alu 0xfffe
	s_or_b32 exec_lo, exec_lo, s3
	s_wait_loadcnt_dscnt 0x0
	s_barrier_signal -1
	s_barrier_wait -1
	global_inv scope:SCOPE_SE
	ds_load_b32 v4, v16 offset:256
	v_add_nc_u32_e32 v5, 1, v5
	v_mov_b32_e32 v25, v2
	s_wait_dscnt 0x0
	v_cmp_gt_u32_e32 vcc_lo, 4, v4
	s_cbranch_vccz .LBB4_58
.LBB4_21:                               ; =>This Loop Header: Depth=1
                                        ;     Child Loop BB4_24 Depth 2
                                        ;     Child Loop BB4_39 Depth 2
	v_mov_b32_e32 v2, s10
	s_mov_b32 s9, exec_lo
	ds_store_b32 v18, v16
	ds_store_b32 v19, v16
	s_wait_loadcnt_dscnt 0x0
	s_barrier_signal -1
	s_barrier_wait -1
	global_inv scope:SCOPE_SE
	v_cmpx_lt_i32_e64 v1, v14
	s_cbranch_execz .LBB4_36
; %bb.22:                               ;   in Loop: Header=BB4_21 Depth=1
	v_mul_lo_u32 v4, s11, v1
	v_ashrrev_i32_e32 v2, 31, v1
	s_mov_b32 s17, 0
	s_delay_alu instid0(VALU_DEP_1) | instskip(SKIP_1) | instid1(VALU_DEP_4)
	v_lshlrev_b64_e32 v[26:27], 2, v[1:2]
	v_mov_b32_e32 v2, s10
	v_add_nc_u32_e32 v6, v7, v4
	v_add_nc_u32_e32 v4, v8, v4
	s_delay_alu instid0(VALU_DEP_2) | instskip(NEXT) | instid1(VALU_DEP_2)
	v_mad_co_u64_u32 v[10:11], null, s11, v6, v[8:9]
	v_mad_co_u64_u32 v[11:12], null, s11, v4, v[7:8]
	v_add_co_u32 v12, vcc_lo, s20, v26
	s_wait_alu 0xfffd
	v_add_co_ci_u32_e64 v13, null, s21, v27, vcc_lo
	v_mov_b32_e32 v4, 0
	s_branch .LBB4_24
.LBB4_23:                               ;   in Loop: Header=BB4_24 Depth=2
	s_wait_alu 0xfffe
	s_or_b32 exec_lo, exec_lo, s19
	v_dual_mov_b32 v26, v1 :: v_dual_mov_b32 v1, v6
	s_and_b32 s3, exec_lo, s28
	s_wait_alu 0xfffe
	s_or_b32 s17, s3, s17
	s_wait_alu 0xfffe
	s_and_not1_b32 exec_lo, exec_lo, s17
	s_cbranch_execz .LBB4_35
.LBB4_24:                               ;   Parent Loop BB4_21 Depth=1
                                        ; =>  This Inner Loop Header: Depth=2
	global_load_b32 v6, v[12:13], off
	s_wait_loadcnt 0x0
	v_subrev_nc_u32_e32 v6, s4, v6
	s_delay_alu instid0(VALU_DEP_1)
	v_cmp_le_i32_e64 s3, v6, v25
	s_and_saveexec_b32 s19, s3
	s_wait_alu 0xfffe
	s_xor_b32 s19, exec_lo, s19
	s_cbranch_execz .LBB4_31
; %bb.25:                               ;   in Loop: Header=BB4_24 Depth=2
	ds_store_b32 v18, v24
	s_and_saveexec_b32 s28, s0
	s_cbranch_execz .LBB4_30
; %bb.26:                               ;   in Loop: Header=BB4_24 Depth=2
	s_and_b32 vcc_lo, exec_lo, s7
	s_mov_b32 s29, -1
	s_wait_alu 0xfffe
	s_cbranch_vccz .LBB4_28
; %bb.27:                               ;   in Loop: Header=BB4_24 Depth=2
	v_add_nc_u32_e32 v26, v11, v4
	s_mov_b32 s29, 0
	s_delay_alu instid0(VALU_DEP_1) | instskip(NEXT) | instid1(VALU_DEP_1)
	v_ashrrev_i32_e32 v27, 31, v26
	v_lshlrev_b64_e32 v[26:27], 2, v[26:27]
	s_wait_kmcnt 0x0
	s_delay_alu instid0(VALU_DEP_1) | instskip(SKIP_1) | instid1(VALU_DEP_2)
	v_add_co_u32 v26, vcc_lo, s24, v26
	s_wait_alu 0xfffd
	v_add_co_ci_u32_e64 v27, null, s25, v27, vcc_lo
	global_load_b32 v6, v[26:27], off
	s_wait_loadcnt 0x0
	v_mul_f32_e32 v6, s16, v6
	ds_store_b32 v20, v6
.LBB4_28:                               ;   in Loop: Header=BB4_24 Depth=2
	s_and_not1_b32 vcc_lo, exec_lo, s29
	s_wait_alu 0xfffe
	s_cbranch_vccnz .LBB4_30
; %bb.29:                               ;   in Loop: Header=BB4_24 Depth=2
	v_add_nc_u32_e32 v26, v10, v4
	s_delay_alu instid0(VALU_DEP_1) | instskip(NEXT) | instid1(VALU_DEP_1)
	v_ashrrev_i32_e32 v27, 31, v26
	v_lshlrev_b64_e32 v[26:27], 2, v[26:27]
	s_wait_kmcnt 0x0
	s_delay_alu instid0(VALU_DEP_1) | instskip(SKIP_1) | instid1(VALU_DEP_2)
	v_add_co_u32 v26, vcc_lo, s24, v26
	s_wait_alu 0xfffd
	v_add_co_ci_u32_e64 v27, null, s25, v27, vcc_lo
	global_load_b32 v6, v[26:27], off
	s_wait_loadcnt 0x0
	v_mul_f32_e32 v6, s16, v6
	ds_store_b32 v21, v6
.LBB4_30:                               ;   in Loop: Header=BB4_24 Depth=2
	s_or_b32 exec_lo, exec_lo, s28
                                        ; implicit-def: $vgpr6
	s_wait_alu 0xfffe
	s_and_not1_saveexec_b32 s19, s19
	s_branch .LBB4_32
.LBB4_31:                               ;   in Loop: Header=BB4_24 Depth=2
	s_wait_alu 0xfffe
	s_and_not1_saveexec_b32 s19, s19
.LBB4_32:                               ;   in Loop: Header=BB4_24 Depth=2
	v_min_i32_e32 v2, v6, v2
; %bb.33:                               ;   in Loop: Header=BB4_24 Depth=2
	s_wait_alu 0xfffe
	s_or_b32 exec_lo, exec_lo, s19
	s_mov_b32 s28, -1
                                        ; implicit-def: $vgpr6
	s_and_saveexec_b32 s19, s3
	s_cbranch_execz .LBB4_23
; %bb.34:                               ;   in Loop: Header=BB4_24 Depth=2
	v_dual_mov_b32 v1, v14 :: v_dual_add_nc_u32 v6, 1, v1
	v_add_co_u32 v12, s3, v12, 4
	v_add_nc_u32_e32 v4, s8, v4
	s_delay_alu instid0(VALU_DEP_3)
	v_cmp_ge_i32_e32 vcc_lo, v6, v14
	s_wait_alu 0xf1ff
	v_add_co_ci_u32_e64 v13, null, 0, v13, s3
	s_or_not1_b32 s28, vcc_lo, exec_lo
	s_branch .LBB4_23
.LBB4_35:                               ;   in Loop: Header=BB4_21 Depth=1
	s_or_b32 exec_lo, exec_lo, s17
	v_mov_b32_e32 v1, v26
.LBB4_36:                               ;   in Loop: Header=BB4_21 Depth=1
	s_wait_alu 0xfffe
	s_or_b32 exec_lo, exec_lo, s9
	s_delay_alu instid0(SALU_CYCLE_1)
	s_mov_b32 s9, exec_lo
	s_wait_loadcnt_dscnt 0x0
	s_barrier_signal -1
	s_barrier_wait -1
	global_inv scope:SCOPE_SE
	v_cmpx_lt_i32_e64 v3, v15
	s_cbranch_execz .LBB4_51
; %bb.37:                               ;   in Loop: Header=BB4_21 Depth=1
	v_mul_lo_u32 v6, s11, v3
	v_ashrrev_i32_e32 v4, 31, v3
	s_mov_b32 s17, 0
	s_delay_alu instid0(VALU_DEP_1) | instskip(SKIP_1) | instid1(VALU_DEP_4)
	v_lshlrev_b64_e32 v[26:27], 2, v[3:4]
	v_mov_b32_e32 v4, 0
	v_add_nc_u32_e32 v10, v7, v6
	v_add_nc_u32_e32 v6, v8, v6
	s_delay_alu instid0(VALU_DEP_2) | instskip(NEXT) | instid1(VALU_DEP_2)
	v_mad_co_u64_u32 v[10:11], null, s11, v10, v[8:9]
	v_mad_co_u64_u32 v[11:12], null, s11, v6, v[7:8]
	v_add_co_u32 v12, vcc_lo, s22, v26
	s_wait_alu 0xfffd
	v_add_co_ci_u32_e64 v13, null, s23, v27, vcc_lo
	s_branch .LBB4_39
.LBB4_38:                               ;   in Loop: Header=BB4_39 Depth=2
	s_wait_alu 0xfffe
	s_or_b32 exec_lo, exec_lo, s19
	v_dual_mov_b32 v26, v3 :: v_dual_mov_b32 v3, v6
	s_and_b32 s3, exec_lo, s28
	s_wait_alu 0xfffe
	s_or_b32 s17, s3, s17
	s_wait_alu 0xfffe
	s_and_not1_b32 exec_lo, exec_lo, s17
	s_cbranch_execz .LBB4_50
.LBB4_39:                               ;   Parent Loop BB4_21 Depth=1
                                        ; =>  This Inner Loop Header: Depth=2
	global_load_b32 v6, v[12:13], off
	s_wait_loadcnt 0x0
	v_subrev_nc_u32_e32 v6, s5, v6
	s_delay_alu instid0(VALU_DEP_1)
	v_cmp_le_i32_e64 s3, v6, v25
	s_and_saveexec_b32 s19, s3
	s_wait_alu 0xfffe
	s_xor_b32 s19, exec_lo, s19
	s_cbranch_execz .LBB4_46
; %bb.40:                               ;   in Loop: Header=BB4_39 Depth=2
	ds_store_b32 v18, v24
	s_and_saveexec_b32 s28, s0
	s_cbranch_execz .LBB4_45
; %bb.41:                               ;   in Loop: Header=BB4_39 Depth=2
	s_and_b32 vcc_lo, exec_lo, s7
	s_mov_b32 s29, -1
	s_wait_alu 0xfffe
	s_cbranch_vccz .LBB4_43
; %bb.42:                               ;   in Loop: Header=BB4_39 Depth=2
	v_add_nc_u32_e32 v26, v11, v4
	s_mov_b32 s29, 0
	s_delay_alu instid0(VALU_DEP_1) | instskip(NEXT) | instid1(VALU_DEP_1)
	v_ashrrev_i32_e32 v27, 31, v26
	v_lshlrev_b64_e32 v[26:27], 2, v[26:27]
	s_wait_kmcnt 0x0
	s_delay_alu instid0(VALU_DEP_1) | instskip(SKIP_1) | instid1(VALU_DEP_2)
	v_add_co_u32 v26, vcc_lo, s26, v26
	s_wait_alu 0xfffd
	v_add_co_ci_u32_e64 v27, null, s27, v27, vcc_lo
	global_load_b32 v6, v[26:27], off
	ds_load_b32 v26, v20
	s_wait_loadcnt_dscnt 0x0
	v_fmac_f32_e32 v26, s18, v6
	ds_store_b32 v20, v26
.LBB4_43:                               ;   in Loop: Header=BB4_39 Depth=2
	s_and_not1_b32 vcc_lo, exec_lo, s29
	s_wait_alu 0xfffe
	s_cbranch_vccnz .LBB4_45
; %bb.44:                               ;   in Loop: Header=BB4_39 Depth=2
	v_add_nc_u32_e32 v26, v10, v4
	s_delay_alu instid0(VALU_DEP_1) | instskip(NEXT) | instid1(VALU_DEP_1)
	v_ashrrev_i32_e32 v27, 31, v26
	v_lshlrev_b64_e32 v[26:27], 2, v[26:27]
	s_wait_kmcnt 0x0
	s_delay_alu instid0(VALU_DEP_1) | instskip(SKIP_1) | instid1(VALU_DEP_2)
	v_add_co_u32 v26, vcc_lo, s26, v26
	s_wait_alu 0xfffd
	v_add_co_ci_u32_e64 v27, null, s27, v27, vcc_lo
	global_load_b32 v6, v[26:27], off
	ds_load_b32 v26, v21
	s_wait_loadcnt_dscnt 0x0
	v_fmac_f32_e32 v26, s18, v6
	ds_store_b32 v21, v26
.LBB4_45:                               ;   in Loop: Header=BB4_39 Depth=2
	s_or_b32 exec_lo, exec_lo, s28
                                        ; implicit-def: $vgpr6
	s_wait_alu 0xfffe
	s_and_not1_saveexec_b32 s19, s19
	s_branch .LBB4_47
.LBB4_46:                               ;   in Loop: Header=BB4_39 Depth=2
	s_wait_alu 0xfffe
	s_and_not1_saveexec_b32 s19, s19
.LBB4_47:                               ;   in Loop: Header=BB4_39 Depth=2
	v_min_i32_e32 v2, v6, v2
; %bb.48:                               ;   in Loop: Header=BB4_39 Depth=2
	s_wait_alu 0xfffe
	s_or_b32 exec_lo, exec_lo, s19
	s_mov_b32 s28, -1
                                        ; implicit-def: $vgpr6
	s_and_saveexec_b32 s19, s3
	s_cbranch_execz .LBB4_38
; %bb.49:                               ;   in Loop: Header=BB4_39 Depth=2
	v_dual_mov_b32 v3, v15 :: v_dual_add_nc_u32 v6, 1, v3
	v_add_co_u32 v12, s3, v12, 4
	v_add_nc_u32_e32 v4, s8, v4
	s_delay_alu instid0(VALU_DEP_3)
	v_cmp_ge_i32_e32 vcc_lo, v6, v15
	s_wait_alu 0xf1ff
	v_add_co_ci_u32_e64 v13, null, 0, v13, s3
	s_or_not1_b32 s28, vcc_lo, exec_lo
	s_branch .LBB4_38
.LBB4_50:                               ;   in Loop: Header=BB4_21 Depth=1
	s_or_b32 exec_lo, exec_lo, s17
	v_mov_b32_e32 v3, v26
.LBB4_51:                               ;   in Loop: Header=BB4_21 Depth=1
	s_wait_alu 0xfffe
	s_or_b32 exec_lo, exec_lo, s9
	s_wait_loadcnt_dscnt 0x0
	s_barrier_signal -1
	s_barrier_wait -1
	global_inv scope:SCOPE_SE
	ds_load_b32 v4, v18
	s_mov_b32 s3, exec_lo
	s_wait_dscnt 0x0
	v_cmpx_ne_u32_e32 0, v4
	s_cbranch_execz .LBB4_54
; %bb.52:                               ;   in Loop: Header=BB4_21 Depth=1
	v_ashrrev_i32_e32 v6, 31, v5
	v_add_nc_u32_e32 v4, s6, v25
	s_delay_alu instid0(VALU_DEP_2) | instskip(SKIP_1) | instid1(VALU_DEP_1)
	v_lshlrev_b64_e32 v[10:11], 2, v[5:6]
	s_wait_kmcnt 0x0
	v_add_co_u32 v10, vcc_lo, s12, v10
	s_wait_alu 0xfffd
	s_delay_alu instid0(VALU_DEP_2)
	v_add_co_ci_u32_e64 v11, null, s13, v11, vcc_lo
	global_store_b32 v[10:11], v4, off
	s_and_b32 exec_lo, exec_lo, s0
	s_cbranch_execz .LBB4_54
; %bb.53:                               ;   in Loop: Header=BB4_21 Depth=1
	v_mad_co_u64_u32 v[10:11], null, v5, s11, v[0:1]
	ds_load_b32 v4, v23
	v_mad_co_u64_u32 v[10:11], null, v10, s11, v[9:10]
	s_delay_alu instid0(VALU_DEP_1) | instskip(NEXT) | instid1(VALU_DEP_1)
	v_ashrrev_i32_e32 v11, 31, v10
	v_lshlrev_b64_e32 v[10:11], 2, v[10:11]
	s_delay_alu instid0(VALU_DEP_1) | instskip(SKIP_1) | instid1(VALU_DEP_2)
	v_add_co_u32 v10, vcc_lo, s14, v10
	s_wait_alu 0xfffd
	v_add_co_ci_u32_e64 v11, null, s15, v11, vcc_lo
	s_wait_dscnt 0x0
	global_store_b32 v[10:11], v4, off
.LBB4_54:                               ;   in Loop: Header=BB4_21 Depth=1
	s_wait_alu 0xfffe
	s_or_b32 exec_lo, exec_lo, s3
	v_cmp_le_i32_e32 vcc_lo, s10, v2
	s_wait_loadcnt 0x0
	s_wait_storecnt 0x0
	s_barrier_signal -1
	s_barrier_wait -1
	global_inv scope:SCOPE_SE
	s_wait_alu 0xfffd
	v_cndmask_b32_e64 v4, 0, 1, vcc_lo
	s_wait_loadcnt 0x0
	s_barrier_signal -1
	s_barrier_wait -1
	global_inv scope:SCOPE_SE
	ds_store_b32 v17, v4
	s_wait_loadcnt_dscnt 0x0
	s_barrier_signal -1
	s_barrier_wait -1
	global_inv scope:SCOPE_SE
	s_and_saveexec_b32 s3, s1
	s_cbranch_execz .LBB4_56
; %bb.55:                               ;   in Loop: Header=BB4_21 Depth=1
	ds_load_2addr_b32 v[10:11], v22 offset1:2
	s_wait_dscnt 0x0
	v_add_nc_u32_e32 v4, v11, v10
	ds_store_b32 v22, v4
.LBB4_56:                               ;   in Loop: Header=BB4_21 Depth=1
	s_wait_alu 0xfffe
	s_or_b32 exec_lo, exec_lo, s3
	s_wait_loadcnt_dscnt 0x0
	s_barrier_signal -1
	s_barrier_wait -1
	global_inv scope:SCOPE_SE
	s_and_saveexec_b32 s3, s2
	s_cbranch_execz .LBB4_20
; %bb.57:                               ;   in Loop: Header=BB4_21 Depth=1
	ds_load_b64 v[10:11], v16 offset:256
	s_wait_dscnt 0x0
	v_add_nc_u32_e32 v4, v11, v10
	ds_store_b32 v16, v4 offset:256
	s_branch .LBB4_20
.LBB4_58:
	s_endpgm
	.section	.rodata,"a",@progbits
	.p2align	6, 0x0
	.amdhsa_kernel _ZN9rocsparseL35bsrgeam_wf_per_row_multipass_kernelILj64ELj4EfEEv20rocsparse_direction_iiiNS_24const_host_device_scalarIT1_EEPKiS6_PKS3_S4_S6_S6_S8_S6_PiPS3_21rocsparse_index_base_SB_SB_b
		.amdhsa_group_segment_fixed_size 288
		.amdhsa_private_segment_fixed_size 0
		.amdhsa_kernarg_size 120
		.amdhsa_user_sgpr_count 2
		.amdhsa_user_sgpr_dispatch_ptr 0
		.amdhsa_user_sgpr_queue_ptr 0
		.amdhsa_user_sgpr_kernarg_segment_ptr 1
		.amdhsa_user_sgpr_dispatch_id 0
		.amdhsa_user_sgpr_private_segment_size 0
		.amdhsa_wavefront_size32 1
		.amdhsa_uses_dynamic_stack 0
		.amdhsa_enable_private_segment 0
		.amdhsa_system_sgpr_workgroup_id_x 1
		.amdhsa_system_sgpr_workgroup_id_y 0
		.amdhsa_system_sgpr_workgroup_id_z 0
		.amdhsa_system_sgpr_workgroup_info 0
		.amdhsa_system_vgpr_workitem_id 0
		.amdhsa_next_free_vgpr 28
		.amdhsa_next_free_sgpr 30
		.amdhsa_reserve_vcc 1
		.amdhsa_float_round_mode_32 0
		.amdhsa_float_round_mode_16_64 0
		.amdhsa_float_denorm_mode_32 3
		.amdhsa_float_denorm_mode_16_64 3
		.amdhsa_fp16_overflow 0
		.amdhsa_workgroup_processor_mode 1
		.amdhsa_memory_ordered 1
		.amdhsa_forward_progress 1
		.amdhsa_inst_pref_size 20
		.amdhsa_round_robin_scheduling 0
		.amdhsa_exception_fp_ieee_invalid_op 0
		.amdhsa_exception_fp_denorm_src 0
		.amdhsa_exception_fp_ieee_div_zero 0
		.amdhsa_exception_fp_ieee_overflow 0
		.amdhsa_exception_fp_ieee_underflow 0
		.amdhsa_exception_fp_ieee_inexact 0
		.amdhsa_exception_int_div_zero 0
	.end_amdhsa_kernel
	.section	.text._ZN9rocsparseL35bsrgeam_wf_per_row_multipass_kernelILj64ELj4EfEEv20rocsparse_direction_iiiNS_24const_host_device_scalarIT1_EEPKiS6_PKS3_S4_S6_S6_S8_S6_PiPS3_21rocsparse_index_base_SB_SB_b,"axG",@progbits,_ZN9rocsparseL35bsrgeam_wf_per_row_multipass_kernelILj64ELj4EfEEv20rocsparse_direction_iiiNS_24const_host_device_scalarIT1_EEPKiS6_PKS3_S4_S6_S6_S8_S6_PiPS3_21rocsparse_index_base_SB_SB_b,comdat
.Lfunc_end4:
	.size	_ZN9rocsparseL35bsrgeam_wf_per_row_multipass_kernelILj64ELj4EfEEv20rocsparse_direction_iiiNS_24const_host_device_scalarIT1_EEPKiS6_PKS3_S4_S6_S6_S8_S6_PiPS3_21rocsparse_index_base_SB_SB_b, .Lfunc_end4-_ZN9rocsparseL35bsrgeam_wf_per_row_multipass_kernelILj64ELj4EfEEv20rocsparse_direction_iiiNS_24const_host_device_scalarIT1_EEPKiS6_PKS3_S4_S6_S6_S8_S6_PiPS3_21rocsparse_index_base_SB_SB_b
                                        ; -- End function
	.set _ZN9rocsparseL35bsrgeam_wf_per_row_multipass_kernelILj64ELj4EfEEv20rocsparse_direction_iiiNS_24const_host_device_scalarIT1_EEPKiS6_PKS3_S4_S6_S6_S8_S6_PiPS3_21rocsparse_index_base_SB_SB_b.num_vgpr, 28
	.set _ZN9rocsparseL35bsrgeam_wf_per_row_multipass_kernelILj64ELj4EfEEv20rocsparse_direction_iiiNS_24const_host_device_scalarIT1_EEPKiS6_PKS3_S4_S6_S6_S8_S6_PiPS3_21rocsparse_index_base_SB_SB_b.num_agpr, 0
	.set _ZN9rocsparseL35bsrgeam_wf_per_row_multipass_kernelILj64ELj4EfEEv20rocsparse_direction_iiiNS_24const_host_device_scalarIT1_EEPKiS6_PKS3_S4_S6_S6_S8_S6_PiPS3_21rocsparse_index_base_SB_SB_b.numbered_sgpr, 30
	.set _ZN9rocsparseL35bsrgeam_wf_per_row_multipass_kernelILj64ELj4EfEEv20rocsparse_direction_iiiNS_24const_host_device_scalarIT1_EEPKiS6_PKS3_S4_S6_S6_S8_S6_PiPS3_21rocsparse_index_base_SB_SB_b.num_named_barrier, 0
	.set _ZN9rocsparseL35bsrgeam_wf_per_row_multipass_kernelILj64ELj4EfEEv20rocsparse_direction_iiiNS_24const_host_device_scalarIT1_EEPKiS6_PKS3_S4_S6_S6_S8_S6_PiPS3_21rocsparse_index_base_SB_SB_b.private_seg_size, 0
	.set _ZN9rocsparseL35bsrgeam_wf_per_row_multipass_kernelILj64ELj4EfEEv20rocsparse_direction_iiiNS_24const_host_device_scalarIT1_EEPKiS6_PKS3_S4_S6_S6_S8_S6_PiPS3_21rocsparse_index_base_SB_SB_b.uses_vcc, 1
	.set _ZN9rocsparseL35bsrgeam_wf_per_row_multipass_kernelILj64ELj4EfEEv20rocsparse_direction_iiiNS_24const_host_device_scalarIT1_EEPKiS6_PKS3_S4_S6_S6_S8_S6_PiPS3_21rocsparse_index_base_SB_SB_b.uses_flat_scratch, 0
	.set _ZN9rocsparseL35bsrgeam_wf_per_row_multipass_kernelILj64ELj4EfEEv20rocsparse_direction_iiiNS_24const_host_device_scalarIT1_EEPKiS6_PKS3_S4_S6_S6_S8_S6_PiPS3_21rocsparse_index_base_SB_SB_b.has_dyn_sized_stack, 0
	.set _ZN9rocsparseL35bsrgeam_wf_per_row_multipass_kernelILj64ELj4EfEEv20rocsparse_direction_iiiNS_24const_host_device_scalarIT1_EEPKiS6_PKS3_S4_S6_S6_S8_S6_PiPS3_21rocsparse_index_base_SB_SB_b.has_recursion, 0
	.set _ZN9rocsparseL35bsrgeam_wf_per_row_multipass_kernelILj64ELj4EfEEv20rocsparse_direction_iiiNS_24const_host_device_scalarIT1_EEPKiS6_PKS3_S4_S6_S6_S8_S6_PiPS3_21rocsparse_index_base_SB_SB_b.has_indirect_call, 0
	.section	.AMDGPU.csdata,"",@progbits
; Kernel info:
; codeLenInByte = 2460
; TotalNumSgprs: 32
; NumVgprs: 28
; ScratchSize: 0
; MemoryBound: 0
; FloatMode: 240
; IeeeMode: 1
; LDSByteSize: 288 bytes/workgroup (compile time only)
; SGPRBlocks: 0
; VGPRBlocks: 3
; NumSGPRsForWavesPerEU: 32
; NumVGPRsForWavesPerEU: 28
; Occupancy: 16
; WaveLimiterHint : 0
; COMPUTE_PGM_RSRC2:SCRATCH_EN: 0
; COMPUTE_PGM_RSRC2:USER_SGPR: 2
; COMPUTE_PGM_RSRC2:TRAP_HANDLER: 0
; COMPUTE_PGM_RSRC2:TGID_X_EN: 1
; COMPUTE_PGM_RSRC2:TGID_Y_EN: 0
; COMPUTE_PGM_RSRC2:TGID_Z_EN: 0
; COMPUTE_PGM_RSRC2:TIDIG_COMP_CNT: 0
	.section	.text._ZN9rocsparseL35bsrgeam_wf_per_row_multipass_kernelILj64ELj8EfEEv20rocsparse_direction_iiiNS_24const_host_device_scalarIT1_EEPKiS6_PKS3_S4_S6_S6_S8_S6_PiPS3_21rocsparse_index_base_SB_SB_b,"axG",@progbits,_ZN9rocsparseL35bsrgeam_wf_per_row_multipass_kernelILj64ELj8EfEEv20rocsparse_direction_iiiNS_24const_host_device_scalarIT1_EEPKiS6_PKS3_S4_S6_S6_S8_S6_PiPS3_21rocsparse_index_base_SB_SB_b,comdat
	.globl	_ZN9rocsparseL35bsrgeam_wf_per_row_multipass_kernelILj64ELj8EfEEv20rocsparse_direction_iiiNS_24const_host_device_scalarIT1_EEPKiS6_PKS3_S4_S6_S6_S8_S6_PiPS3_21rocsparse_index_base_SB_SB_b ; -- Begin function _ZN9rocsparseL35bsrgeam_wf_per_row_multipass_kernelILj64ELj8EfEEv20rocsparse_direction_iiiNS_24const_host_device_scalarIT1_EEPKiS6_PKS3_S4_S6_S6_S8_S6_PiPS3_21rocsparse_index_base_SB_SB_b
	.p2align	8
	.type	_ZN9rocsparseL35bsrgeam_wf_per_row_multipass_kernelILj64ELj8EfEEv20rocsparse_direction_iiiNS_24const_host_device_scalarIT1_EEPKiS6_PKS3_S4_S6_S6_S8_S6_PiPS3_21rocsparse_index_base_SB_SB_b,@function
_ZN9rocsparseL35bsrgeam_wf_per_row_multipass_kernelILj64ELj8EfEEv20rocsparse_direction_iiiNS_24const_host_device_scalarIT1_EEPKiS6_PKS3_S4_S6_S6_S8_S6_PiPS3_21rocsparse_index_base_SB_SB_b: ; @_ZN9rocsparseL35bsrgeam_wf_per_row_multipass_kernelILj64ELj8EfEEv20rocsparse_direction_iiiNS_24const_host_device_scalarIT1_EEPKiS6_PKS3_S4_S6_S6_S8_S6_PiPS3_21rocsparse_index_base_SB_SB_b
; %bb.0:
	s_clause 0x2
	s_load_b128 s[4:7], s[0:1], 0x68
	s_load_b64 s[2:3], s[0:1], 0x10
	s_load_b64 s[16:17], s[0:1], 0x30
	s_wait_kmcnt 0x0
	s_bitcmp1_b32 s7, 0
	s_cselect_b32 s7, -1, 0
	s_delay_alu instid0(SALU_CYCLE_1)
	s_and_b32 vcc_lo, exec_lo, s7
	s_xor_b32 s7, s7, -1
	s_cbranch_vccnz .LBB5_2
; %bb.1:
	s_load_b32 s2, s[2:3], 0x0
.LBB5_2:
	s_load_b64 s[12:13], s[0:1], 0x18
	s_and_not1_b32 vcc_lo, exec_lo, s7
	s_cbranch_vccnz .LBB5_4
; %bb.3:
	s_load_b32 s16, s[16:17], 0x0
.LBB5_4:
	s_load_b128 s[8:11], s[0:1], 0x0
	v_dual_mov_b32 v4, ttmp9 :: v_dual_mov_b32 v1, 0
	v_mov_b32_e32 v14, 0
	s_wait_kmcnt 0x0
	s_cmp_ge_i32 ttmp9, s9
	s_cselect_b32 s3, -1, 0
	s_cmp_lt_i32 ttmp9, s9
	s_cselect_b32 s7, -1, 0
	s_delay_alu instid0(SALU_CYCLE_1)
	s_and_saveexec_b32 s9, s7
	s_cbranch_execz .LBB5_6
; %bb.5:
	v_ashrrev_i32_e64 v5, 31, ttmp9
	s_delay_alu instid0(VALU_DEP_1) | instskip(NEXT) | instid1(VALU_DEP_1)
	v_lshlrev_b64_e32 v[1:2], 2, v[4:5]
	v_add_co_u32 v1, vcc_lo, s12, v1
	s_delay_alu instid0(VALU_DEP_1)
	v_add_co_ci_u32_e64 v2, null, s13, v2, vcc_lo
	global_load_b32 v1, v[1:2], off
	s_wait_loadcnt 0x0
	v_subrev_nc_u32_e32 v1, s4, v1
.LBB5_6:
	s_or_b32 exec_lo, exec_lo, s9
	s_load_b64 s[14:15], s[0:1], 0x38
	s_and_saveexec_b32 s9, s7
	s_cbranch_execz .LBB5_8
; %bb.7:
	v_ashrrev_i32_e64 v5, 31, ttmp9
	s_delay_alu instid0(VALU_DEP_1) | instskip(NEXT) | instid1(VALU_DEP_1)
	v_lshlrev_b64_e32 v[2:3], 2, v[4:5]
	v_add_co_u32 v2, vcc_lo, s12, v2
	s_wait_alu 0xfffd
	s_delay_alu instid0(VALU_DEP_2)
	v_add_co_ci_u32_e64 v3, null, s13, v3, vcc_lo
	global_load_b32 v2, v[2:3], off offset:4
	s_wait_loadcnt 0x0
	v_subrev_nc_u32_e32 v14, s4, v2
.LBB5_8:
	s_or_b32 exec_lo, exec_lo, s9
	v_mov_b32_e32 v15, 0
	v_mov_b32_e32 v3, 0
	s_and_saveexec_b32 s9, s7
	s_cbranch_execz .LBB5_10
; %bb.9:
	v_ashrrev_i32_e64 v5, 31, ttmp9
	s_delay_alu instid0(VALU_DEP_1) | instskip(SKIP_1) | instid1(VALU_DEP_1)
	v_lshlrev_b64_e32 v[2:3], 2, v[4:5]
	s_wait_kmcnt 0x0
	v_add_co_u32 v2, vcc_lo, s14, v2
	s_wait_alu 0xfffd
	s_delay_alu instid0(VALU_DEP_2)
	v_add_co_ci_u32_e64 v3, null, s15, v3, vcc_lo
	global_load_b32 v2, v[2:3], off
	s_wait_loadcnt 0x0
	v_subrev_nc_u32_e32 v3, s5, v2
.LBB5_10:
	s_or_b32 exec_lo, exec_lo, s9
	s_and_saveexec_b32 s9, s7
	s_cbranch_execz .LBB5_12
; %bb.11:
	v_ashrrev_i32_e64 v5, 31, ttmp9
	s_delay_alu instid0(VALU_DEP_1) | instskip(SKIP_1) | instid1(VALU_DEP_1)
	v_lshlrev_b64_e32 v[5:6], 2, v[4:5]
	s_wait_kmcnt 0x0
	v_add_co_u32 v5, vcc_lo, s14, v5
	s_wait_alu 0xfffd
	s_delay_alu instid0(VALU_DEP_2)
	v_add_co_ci_u32_e64 v6, null, s15, v6, vcc_lo
	global_load_b32 v2, v[5:6], off offset:4
	s_wait_loadcnt 0x0
	v_subrev_nc_u32_e32 v15, s5, v2
.LBB5_12:
	s_or_b32 exec_lo, exec_lo, s9
	s_load_b64 s[18:19], s[0:1], 0x20
	v_mov_b32_e32 v5, 0
	s_and_saveexec_b32 s9, s7
	s_cbranch_execz .LBB5_14
; %bb.13:
	s_load_b64 s[12:13], s[0:1], 0x50
	v_ashrrev_i32_e64 v5, 31, ttmp9
	s_delay_alu instid0(VALU_DEP_1) | instskip(SKIP_1) | instid1(VALU_DEP_1)
	v_lshlrev_b64_e32 v[4:5], 2, v[4:5]
	s_wait_kmcnt 0x0
	v_add_co_u32 v4, vcc_lo, s12, v4
	s_wait_alu 0xfffd
	s_delay_alu instid0(VALU_DEP_2)
	v_add_co_ci_u32_e64 v5, null, s13, v5, vcc_lo
	global_load_b32 v2, v[4:5], off
	s_wait_loadcnt 0x0
	v_subrev_nc_u32_e32 v5, s6, v2
.LBB5_14:
	s_or_b32 exec_lo, exec_lo, s9
	s_load_b64 s[20:21], s[0:1], 0x40
	v_mov_b32_e32 v2, s10
	s_mov_b32 s7, exec_lo
	v_cmpx_lt_i32_e64 v1, v14
	s_cbranch_execz .LBB5_16
; %bb.15:
	v_ashrrev_i32_e32 v2, 31, v1
	s_delay_alu instid0(VALU_DEP_1) | instskip(SKIP_1) | instid1(VALU_DEP_1)
	v_lshlrev_b64_e32 v[6:7], 2, v[1:2]
	s_wait_kmcnt 0x0
	v_add_co_u32 v6, vcc_lo, s18, v6
	s_wait_alu 0xfffd
	s_delay_alu instid0(VALU_DEP_2)
	v_add_co_ci_u32_e64 v7, null, s19, v7, vcc_lo
	global_load_b32 v2, v[6:7], off
	s_wait_loadcnt 0x0
	v_subrev_nc_u32_e32 v2, s4, v2
.LBB5_16:
	s_wait_alu 0xfffe
	s_or_b32 exec_lo, exec_lo, s7
	v_mov_b32_e32 v4, s10
	s_mov_b32 s7, exec_lo
	v_cmpx_lt_i32_e64 v3, v15
	s_cbranch_execz .LBB5_18
; %bb.17:
	v_ashrrev_i32_e32 v4, 31, v3
	s_delay_alu instid0(VALU_DEP_1) | instskip(SKIP_1) | instid1(VALU_DEP_1)
	v_lshlrev_b64_e32 v[6:7], 2, v[3:4]
	s_wait_kmcnt 0x0
	v_add_co_u32 v6, vcc_lo, s20, v6
	s_wait_alu 0xfffd
	s_delay_alu instid0(VALU_DEP_2)
	v_add_co_ci_u32_e64 v7, null, s21, v7, vcc_lo
	global_load_b32 v4, v[6:7], off
	s_wait_loadcnt 0x0
	v_subrev_nc_u32_e32 v4, s5, v4
.LBB5_18:
	s_wait_alu 0xfffe
	s_or_b32 exec_lo, exec_lo, s7
	v_cndmask_b32_e64 v6, 0, 1, s3
	v_mov_b32_e32 v16, 0
	ds_store_b32 v16, v6 offset:256
	s_wait_dscnt 0x0
	s_barrier_signal -1
	s_barrier_wait -1
	global_inv scope:SCOPE_SE
	ds_load_b32 v6, v16 offset:256
	s_wait_dscnt 0x0
	v_cmp_ne_u32_e32 vcc_lo, 0, v6
	s_cbranch_vccz .LBB5_20
.LBB5_19:
	s_endpgm
.LBB5_20:
	s_wait_kmcnt 0x0
	s_clause 0x2
	s_load_b128 s[12:15], s[0:1], 0x58
	s_load_b64 s[22:23], s[0:1], 0x28
	s_load_b64 s[24:25], s[0:1], 0x48
	v_dual_mov_b32 v18, 0x104 :: v_dual_and_b32 v7, 7, v0
	v_lshrrev_b32_e32 v8, 3, v0
	s_cmp_lg_u32 s8, 0
	v_mov_b32_e32 v17, 0x100
	s_cselect_b32 s3, -1, 0
	s_cmp_eq_u32 s8, 0
	v_min_i32_e32 v2, v4, v2
	v_dual_mov_b32 v23, 1 :: v_dual_lshlrev_b32 v4, 2, v8
	s_cselect_b32 vcc_lo, -1, 0
	v_lshlrev_b32_e32 v19, 2, v0
	v_lshlrev_b32_e32 v0, 2, v7
	v_max_i32_e32 v6, v8, v7
	v_lshl_or_b32 v21, v7, 5, v4
	s_mul_i32 s7, s11, s11
	s_delay_alu instid0(VALU_DEP_3) | instskip(NEXT) | instid1(VALU_DEP_3)
	v_lshl_or_b32 v20, v8, 5, v0
	v_cmp_gt_i32_e64 s0, s11, v6
	s_wait_alu 0xfffe
	v_dual_cndmask_b32 v0, v8, v7 :: v_dual_cndmask_b32 v9, v7, v8
	s_delay_alu instid0(VALU_DEP_3)
	v_cndmask_b32_e32 v22, v20, v21, vcc_lo
	s_branch .LBB5_22
.LBB5_21:                               ;   in Loop: Header=BB5_22 Depth=1
	s_wait_alu 0xfffe
	s_or_b32 exec_lo, exec_lo, s1
	v_cmp_le_i32_e32 vcc_lo, s10, v2
	s_wait_loadcnt 0x0
	s_wait_storecnt 0x0
	s_barrier_signal -1
	s_barrier_wait -1
	global_inv scope:SCOPE_SE
	s_wait_alu 0xfffd
	v_cndmask_b32_e64 v4, 0, 1, vcc_lo
	s_wait_loadcnt 0x0
	s_barrier_signal -1
	s_barrier_wait -1
	global_inv scope:SCOPE_SE
	ds_store_b32 v17, v4
	s_wait_loadcnt_dscnt 0x0
	s_barrier_signal -1
	s_barrier_wait -1
	global_inv scope:SCOPE_SE
	ds_load_b32 v4, v16 offset:256
	v_add_nc_u32_e32 v5, 1, v5
	s_wait_dscnt 0x0
	v_cmp_eq_u32_e32 vcc_lo, 0, v4
	s_cbranch_vccz .LBB5_19
.LBB5_22:                               ; =>This Loop Header: Depth=1
                                        ;     Child Loop BB5_25 Depth 2
                                        ;     Child Loop BB5_40 Depth 2
	v_mov_b32_e32 v24, v2
	v_mov_b32_e32 v2, s10
	s_mov_b32 s8, exec_lo
	ds_store_b32 v18, v16
	ds_store_b32 v19, v16
	s_wait_loadcnt_dscnt 0x0
	s_barrier_signal -1
	s_barrier_wait -1
	global_inv scope:SCOPE_SE
	v_cmpx_lt_i32_e64 v1, v14
	s_cbranch_execz .LBB5_37
; %bb.23:                               ;   in Loop: Header=BB5_22 Depth=1
	v_mul_lo_u32 v4, s11, v1
	v_ashrrev_i32_e32 v2, 31, v1
	s_mov_b32 s9, 0
	s_delay_alu instid0(VALU_DEP_1) | instskip(SKIP_1) | instid1(VALU_DEP_4)
	v_lshlrev_b64_e32 v[25:26], 2, v[1:2]
	v_mov_b32_e32 v2, s10
	v_add_nc_u32_e32 v6, v7, v4
	v_add_nc_u32_e32 v4, v8, v4
	s_delay_alu instid0(VALU_DEP_2) | instskip(NEXT) | instid1(VALU_DEP_2)
	v_mad_co_u64_u32 v[10:11], null, s11, v6, v[8:9]
	v_mad_co_u64_u32 v[11:12], null, s11, v4, v[7:8]
	v_add_co_u32 v12, vcc_lo, s18, v25
	s_wait_alu 0xfffd
	v_add_co_ci_u32_e64 v13, null, s19, v26, vcc_lo
	v_mov_b32_e32 v4, 0
	s_branch .LBB5_25
.LBB5_24:                               ;   in Loop: Header=BB5_25 Depth=2
	s_wait_alu 0xfffe
	s_or_b32 exec_lo, exec_lo, s17
	v_mov_b32_e32 v25, v1
	v_mov_b32_e32 v1, v6
	s_and_b32 s1, exec_lo, s26
	s_wait_alu 0xfffe
	s_or_b32 s9, s1, s9
	s_delay_alu instid0(SALU_CYCLE_1)
	s_and_not1_b32 exec_lo, exec_lo, s9
	s_cbranch_execz .LBB5_36
.LBB5_25:                               ;   Parent Loop BB5_22 Depth=1
                                        ; =>  This Inner Loop Header: Depth=2
	global_load_b32 v6, v[12:13], off
	s_wait_loadcnt 0x0
	v_subrev_nc_u32_e32 v6, s4, v6
	s_delay_alu instid0(VALU_DEP_1)
	v_cmp_le_i32_e64 s1, v6, v24
	s_and_saveexec_b32 s17, s1
	s_wait_alu 0xfffe
	s_xor_b32 s17, exec_lo, s17
	s_cbranch_execz .LBB5_32
; %bb.26:                               ;   in Loop: Header=BB5_25 Depth=2
	ds_store_b32 v18, v23
	s_and_saveexec_b32 s26, s0
	s_cbranch_execz .LBB5_31
; %bb.27:                               ;   in Loop: Header=BB5_25 Depth=2
	s_and_b32 vcc_lo, exec_lo, s3
	s_mov_b32 s27, -1
	s_wait_alu 0xfffe
	s_cbranch_vccz .LBB5_29
; %bb.28:                               ;   in Loop: Header=BB5_25 Depth=2
	v_add_nc_u32_e32 v25, v11, v4
	s_mov_b32 s27, 0
	s_delay_alu instid0(VALU_DEP_1) | instskip(NEXT) | instid1(VALU_DEP_1)
	v_ashrrev_i32_e32 v26, 31, v25
	v_lshlrev_b64_e32 v[25:26], 2, v[25:26]
	s_wait_kmcnt 0x0
	s_delay_alu instid0(VALU_DEP_1) | instskip(SKIP_1) | instid1(VALU_DEP_2)
	v_add_co_u32 v25, vcc_lo, s22, v25
	s_wait_alu 0xfffd
	v_add_co_ci_u32_e64 v26, null, s23, v26, vcc_lo
	global_load_b32 v6, v[25:26], off
	s_wait_loadcnt 0x0
	v_mul_f32_e32 v6, s2, v6
	ds_store_b32 v20, v6
.LBB5_29:                               ;   in Loop: Header=BB5_25 Depth=2
	s_and_not1_b32 vcc_lo, exec_lo, s27
	s_wait_alu 0xfffe
	s_cbranch_vccnz .LBB5_31
; %bb.30:                               ;   in Loop: Header=BB5_25 Depth=2
	v_add_nc_u32_e32 v25, v10, v4
	s_delay_alu instid0(VALU_DEP_1) | instskip(NEXT) | instid1(VALU_DEP_1)
	v_ashrrev_i32_e32 v26, 31, v25
	v_lshlrev_b64_e32 v[25:26], 2, v[25:26]
	s_wait_kmcnt 0x0
	s_delay_alu instid0(VALU_DEP_1) | instskip(SKIP_1) | instid1(VALU_DEP_2)
	v_add_co_u32 v25, vcc_lo, s22, v25
	s_wait_alu 0xfffd
	v_add_co_ci_u32_e64 v26, null, s23, v26, vcc_lo
	global_load_b32 v6, v[25:26], off
	s_wait_loadcnt 0x0
	v_mul_f32_e32 v6, s2, v6
	ds_store_b32 v21, v6
.LBB5_31:                               ;   in Loop: Header=BB5_25 Depth=2
	s_or_b32 exec_lo, exec_lo, s26
                                        ; implicit-def: $vgpr6
	s_wait_alu 0xfffe
	s_and_not1_saveexec_b32 s17, s17
	s_branch .LBB5_33
.LBB5_32:                               ;   in Loop: Header=BB5_25 Depth=2
	s_wait_alu 0xfffe
	s_and_not1_saveexec_b32 s17, s17
.LBB5_33:                               ;   in Loop: Header=BB5_25 Depth=2
	v_min_i32_e32 v2, v6, v2
; %bb.34:                               ;   in Loop: Header=BB5_25 Depth=2
	s_wait_alu 0xfffe
	s_or_b32 exec_lo, exec_lo, s17
	s_mov_b32 s26, -1
                                        ; implicit-def: $vgpr6
	s_and_saveexec_b32 s17, s1
	s_cbranch_execz .LBB5_24
; %bb.35:                               ;   in Loop: Header=BB5_25 Depth=2
	v_dual_mov_b32 v1, v14 :: v_dual_add_nc_u32 v6, 1, v1
	v_add_co_u32 v12, s1, v12, 4
	v_add_nc_u32_e32 v4, s7, v4
	s_delay_alu instid0(VALU_DEP_3)
	v_cmp_ge_i32_e32 vcc_lo, v6, v14
	s_wait_alu 0xf1ff
	v_add_co_ci_u32_e64 v13, null, 0, v13, s1
	s_or_not1_b32 s26, vcc_lo, exec_lo
	s_branch .LBB5_24
.LBB5_36:                               ;   in Loop: Header=BB5_22 Depth=1
	s_or_b32 exec_lo, exec_lo, s9
	v_mov_b32_e32 v1, v25
.LBB5_37:                               ;   in Loop: Header=BB5_22 Depth=1
	s_or_b32 exec_lo, exec_lo, s8
	s_delay_alu instid0(SALU_CYCLE_1)
	s_mov_b32 s8, exec_lo
	s_wait_loadcnt_dscnt 0x0
	s_barrier_signal -1
	s_barrier_wait -1
	global_inv scope:SCOPE_SE
	v_cmpx_lt_i32_e64 v3, v15
	s_cbranch_execz .LBB5_52
; %bb.38:                               ;   in Loop: Header=BB5_22 Depth=1
	v_mul_lo_u32 v6, s11, v3
	v_ashrrev_i32_e32 v4, 31, v3
	s_mov_b32 s9, 0
	s_delay_alu instid0(VALU_DEP_1) | instskip(SKIP_1) | instid1(VALU_DEP_4)
	v_lshlrev_b64_e32 v[25:26], 2, v[3:4]
	v_mov_b32_e32 v4, 0
	v_add_nc_u32_e32 v10, v7, v6
	v_add_nc_u32_e32 v6, v8, v6
	s_delay_alu instid0(VALU_DEP_2) | instskip(NEXT) | instid1(VALU_DEP_2)
	v_mad_co_u64_u32 v[10:11], null, s11, v10, v[8:9]
	v_mad_co_u64_u32 v[11:12], null, s11, v6, v[7:8]
	v_add_co_u32 v12, vcc_lo, s20, v25
	s_wait_alu 0xfffd
	v_add_co_ci_u32_e64 v13, null, s21, v26, vcc_lo
	s_branch .LBB5_40
.LBB5_39:                               ;   in Loop: Header=BB5_40 Depth=2
	s_wait_alu 0xfffe
	s_or_b32 exec_lo, exec_lo, s17
	v_mov_b32_e32 v25, v3
	v_mov_b32_e32 v3, v6
	s_and_b32 s1, exec_lo, s26
	s_wait_alu 0xfffe
	s_or_b32 s9, s1, s9
	s_delay_alu instid0(SALU_CYCLE_1)
	s_and_not1_b32 exec_lo, exec_lo, s9
	s_cbranch_execz .LBB5_51
.LBB5_40:                               ;   Parent Loop BB5_22 Depth=1
                                        ; =>  This Inner Loop Header: Depth=2
	global_load_b32 v6, v[12:13], off
	s_wait_loadcnt 0x0
	v_subrev_nc_u32_e32 v6, s5, v6
	s_delay_alu instid0(VALU_DEP_1)
	v_cmp_le_i32_e64 s1, v6, v24
	s_and_saveexec_b32 s17, s1
	s_wait_alu 0xfffe
	s_xor_b32 s17, exec_lo, s17
	s_cbranch_execz .LBB5_47
; %bb.41:                               ;   in Loop: Header=BB5_40 Depth=2
	ds_store_b32 v18, v23
	s_and_saveexec_b32 s26, s0
	s_cbranch_execz .LBB5_46
; %bb.42:                               ;   in Loop: Header=BB5_40 Depth=2
	s_and_b32 vcc_lo, exec_lo, s3
	s_mov_b32 s27, -1
	s_wait_alu 0xfffe
	s_cbranch_vccz .LBB5_44
; %bb.43:                               ;   in Loop: Header=BB5_40 Depth=2
	v_add_nc_u32_e32 v25, v11, v4
	s_mov_b32 s27, 0
	s_delay_alu instid0(VALU_DEP_1) | instskip(NEXT) | instid1(VALU_DEP_1)
	v_ashrrev_i32_e32 v26, 31, v25
	v_lshlrev_b64_e32 v[25:26], 2, v[25:26]
	s_wait_kmcnt 0x0
	s_delay_alu instid0(VALU_DEP_1) | instskip(SKIP_1) | instid1(VALU_DEP_2)
	v_add_co_u32 v25, vcc_lo, s24, v25
	s_wait_alu 0xfffd
	v_add_co_ci_u32_e64 v26, null, s25, v26, vcc_lo
	global_load_b32 v6, v[25:26], off
	ds_load_b32 v25, v20
	s_wait_loadcnt_dscnt 0x0
	v_fmac_f32_e32 v25, s16, v6
	ds_store_b32 v20, v25
.LBB5_44:                               ;   in Loop: Header=BB5_40 Depth=2
	s_and_not1_b32 vcc_lo, exec_lo, s27
	s_wait_alu 0xfffe
	s_cbranch_vccnz .LBB5_46
; %bb.45:                               ;   in Loop: Header=BB5_40 Depth=2
	v_add_nc_u32_e32 v25, v10, v4
	s_delay_alu instid0(VALU_DEP_1) | instskip(NEXT) | instid1(VALU_DEP_1)
	v_ashrrev_i32_e32 v26, 31, v25
	v_lshlrev_b64_e32 v[25:26], 2, v[25:26]
	s_wait_kmcnt 0x0
	s_delay_alu instid0(VALU_DEP_1) | instskip(SKIP_1) | instid1(VALU_DEP_2)
	v_add_co_u32 v25, vcc_lo, s24, v25
	s_wait_alu 0xfffd
	v_add_co_ci_u32_e64 v26, null, s25, v26, vcc_lo
	global_load_b32 v6, v[25:26], off
	ds_load_b32 v25, v21
	s_wait_loadcnt_dscnt 0x0
	v_fmac_f32_e32 v25, s16, v6
	ds_store_b32 v21, v25
.LBB5_46:                               ;   in Loop: Header=BB5_40 Depth=2
	s_or_b32 exec_lo, exec_lo, s26
                                        ; implicit-def: $vgpr6
	s_wait_alu 0xfffe
	s_and_not1_saveexec_b32 s17, s17
	s_branch .LBB5_48
.LBB5_47:                               ;   in Loop: Header=BB5_40 Depth=2
	s_wait_alu 0xfffe
	s_and_not1_saveexec_b32 s17, s17
.LBB5_48:                               ;   in Loop: Header=BB5_40 Depth=2
	v_min_i32_e32 v2, v6, v2
; %bb.49:                               ;   in Loop: Header=BB5_40 Depth=2
	s_wait_alu 0xfffe
	s_or_b32 exec_lo, exec_lo, s17
	s_mov_b32 s26, -1
                                        ; implicit-def: $vgpr6
	s_and_saveexec_b32 s17, s1
	s_cbranch_execz .LBB5_39
; %bb.50:                               ;   in Loop: Header=BB5_40 Depth=2
	v_dual_mov_b32 v3, v15 :: v_dual_add_nc_u32 v6, 1, v3
	v_add_co_u32 v12, s1, v12, 4
	v_add_nc_u32_e32 v4, s7, v4
	s_delay_alu instid0(VALU_DEP_3)
	v_cmp_ge_i32_e32 vcc_lo, v6, v15
	s_wait_alu 0xf1ff
	v_add_co_ci_u32_e64 v13, null, 0, v13, s1
	s_or_not1_b32 s26, vcc_lo, exec_lo
	s_branch .LBB5_39
.LBB5_51:                               ;   in Loop: Header=BB5_22 Depth=1
	s_or_b32 exec_lo, exec_lo, s9
	v_mov_b32_e32 v3, v25
.LBB5_52:                               ;   in Loop: Header=BB5_22 Depth=1
	s_or_b32 exec_lo, exec_lo, s8
	s_wait_loadcnt_dscnt 0x0
	s_barrier_signal -1
	s_barrier_wait -1
	global_inv scope:SCOPE_SE
	ds_load_b32 v4, v18
	s_mov_b32 s1, exec_lo
	s_wait_dscnt 0x0
	v_cmpx_ne_u32_e32 0, v4
	s_cbranch_execz .LBB5_21
; %bb.53:                               ;   in Loop: Header=BB5_22 Depth=1
	v_ashrrev_i32_e32 v6, 31, v5
	v_add_nc_u32_e32 v4, s6, v24
	s_delay_alu instid0(VALU_DEP_2) | instskip(SKIP_1) | instid1(VALU_DEP_1)
	v_lshlrev_b64_e32 v[10:11], 2, v[5:6]
	s_wait_kmcnt 0x0
	v_add_co_u32 v10, vcc_lo, s12, v10
	s_wait_alu 0xfffd
	s_delay_alu instid0(VALU_DEP_2)
	v_add_co_ci_u32_e64 v11, null, s13, v11, vcc_lo
	global_store_b32 v[10:11], v4, off
	s_and_b32 exec_lo, exec_lo, s0
	s_cbranch_execz .LBB5_21
; %bb.54:                               ;   in Loop: Header=BB5_22 Depth=1
	v_mad_co_u64_u32 v[10:11], null, v5, s11, v[0:1]
	ds_load_b32 v4, v22
	v_mad_co_u64_u32 v[10:11], null, v10, s11, v[9:10]
	s_delay_alu instid0(VALU_DEP_1) | instskip(NEXT) | instid1(VALU_DEP_1)
	v_ashrrev_i32_e32 v11, 31, v10
	v_lshlrev_b64_e32 v[10:11], 2, v[10:11]
	s_delay_alu instid0(VALU_DEP_1) | instskip(SKIP_1) | instid1(VALU_DEP_2)
	v_add_co_u32 v10, vcc_lo, s14, v10
	s_wait_alu 0xfffd
	v_add_co_ci_u32_e64 v11, null, s15, v11, vcc_lo
	s_wait_dscnt 0x0
	global_store_b32 v[10:11], v4, off
	s_branch .LBB5_21
	.section	.rodata,"a",@progbits
	.p2align	6, 0x0
	.amdhsa_kernel _ZN9rocsparseL35bsrgeam_wf_per_row_multipass_kernelILj64ELj8EfEEv20rocsparse_direction_iiiNS_24const_host_device_scalarIT1_EEPKiS6_PKS3_S4_S6_S6_S8_S6_PiPS3_21rocsparse_index_base_SB_SB_b
		.amdhsa_group_segment_fixed_size 264
		.amdhsa_private_segment_fixed_size 0
		.amdhsa_kernarg_size 120
		.amdhsa_user_sgpr_count 2
		.amdhsa_user_sgpr_dispatch_ptr 0
		.amdhsa_user_sgpr_queue_ptr 0
		.amdhsa_user_sgpr_kernarg_segment_ptr 1
		.amdhsa_user_sgpr_dispatch_id 0
		.amdhsa_user_sgpr_private_segment_size 0
		.amdhsa_wavefront_size32 1
		.amdhsa_uses_dynamic_stack 0
		.amdhsa_enable_private_segment 0
		.amdhsa_system_sgpr_workgroup_id_x 1
		.amdhsa_system_sgpr_workgroup_id_y 0
		.amdhsa_system_sgpr_workgroup_id_z 0
		.amdhsa_system_sgpr_workgroup_info 0
		.amdhsa_system_vgpr_workitem_id 0
		.amdhsa_next_free_vgpr 27
		.amdhsa_next_free_sgpr 28
		.amdhsa_reserve_vcc 1
		.amdhsa_float_round_mode_32 0
		.amdhsa_float_round_mode_16_64 0
		.amdhsa_float_denorm_mode_32 3
		.amdhsa_float_denorm_mode_16_64 3
		.amdhsa_fp16_overflow 0
		.amdhsa_workgroup_processor_mode 1
		.amdhsa_memory_ordered 1
		.amdhsa_forward_progress 1
		.amdhsa_inst_pref_size 19
		.amdhsa_round_robin_scheduling 0
		.amdhsa_exception_fp_ieee_invalid_op 0
		.amdhsa_exception_fp_denorm_src 0
		.amdhsa_exception_fp_ieee_div_zero 0
		.amdhsa_exception_fp_ieee_overflow 0
		.amdhsa_exception_fp_ieee_underflow 0
		.amdhsa_exception_fp_ieee_inexact 0
		.amdhsa_exception_int_div_zero 0
	.end_amdhsa_kernel
	.section	.text._ZN9rocsparseL35bsrgeam_wf_per_row_multipass_kernelILj64ELj8EfEEv20rocsparse_direction_iiiNS_24const_host_device_scalarIT1_EEPKiS6_PKS3_S4_S6_S6_S8_S6_PiPS3_21rocsparse_index_base_SB_SB_b,"axG",@progbits,_ZN9rocsparseL35bsrgeam_wf_per_row_multipass_kernelILj64ELj8EfEEv20rocsparse_direction_iiiNS_24const_host_device_scalarIT1_EEPKiS6_PKS3_S4_S6_S6_S8_S6_PiPS3_21rocsparse_index_base_SB_SB_b,comdat
.Lfunc_end5:
	.size	_ZN9rocsparseL35bsrgeam_wf_per_row_multipass_kernelILj64ELj8EfEEv20rocsparse_direction_iiiNS_24const_host_device_scalarIT1_EEPKiS6_PKS3_S4_S6_S6_S8_S6_PiPS3_21rocsparse_index_base_SB_SB_b, .Lfunc_end5-_ZN9rocsparseL35bsrgeam_wf_per_row_multipass_kernelILj64ELj8EfEEv20rocsparse_direction_iiiNS_24const_host_device_scalarIT1_EEPKiS6_PKS3_S4_S6_S6_S8_S6_PiPS3_21rocsparse_index_base_SB_SB_b
                                        ; -- End function
	.set _ZN9rocsparseL35bsrgeam_wf_per_row_multipass_kernelILj64ELj8EfEEv20rocsparse_direction_iiiNS_24const_host_device_scalarIT1_EEPKiS6_PKS3_S4_S6_S6_S8_S6_PiPS3_21rocsparse_index_base_SB_SB_b.num_vgpr, 27
	.set _ZN9rocsparseL35bsrgeam_wf_per_row_multipass_kernelILj64ELj8EfEEv20rocsparse_direction_iiiNS_24const_host_device_scalarIT1_EEPKiS6_PKS3_S4_S6_S6_S8_S6_PiPS3_21rocsparse_index_base_SB_SB_b.num_agpr, 0
	.set _ZN9rocsparseL35bsrgeam_wf_per_row_multipass_kernelILj64ELj8EfEEv20rocsparse_direction_iiiNS_24const_host_device_scalarIT1_EEPKiS6_PKS3_S4_S6_S6_S8_S6_PiPS3_21rocsparse_index_base_SB_SB_b.numbered_sgpr, 28
	.set _ZN9rocsparseL35bsrgeam_wf_per_row_multipass_kernelILj64ELj8EfEEv20rocsparse_direction_iiiNS_24const_host_device_scalarIT1_EEPKiS6_PKS3_S4_S6_S6_S8_S6_PiPS3_21rocsparse_index_base_SB_SB_b.num_named_barrier, 0
	.set _ZN9rocsparseL35bsrgeam_wf_per_row_multipass_kernelILj64ELj8EfEEv20rocsparse_direction_iiiNS_24const_host_device_scalarIT1_EEPKiS6_PKS3_S4_S6_S6_S8_S6_PiPS3_21rocsparse_index_base_SB_SB_b.private_seg_size, 0
	.set _ZN9rocsparseL35bsrgeam_wf_per_row_multipass_kernelILj64ELj8EfEEv20rocsparse_direction_iiiNS_24const_host_device_scalarIT1_EEPKiS6_PKS3_S4_S6_S6_S8_S6_PiPS3_21rocsparse_index_base_SB_SB_b.uses_vcc, 1
	.set _ZN9rocsparseL35bsrgeam_wf_per_row_multipass_kernelILj64ELj8EfEEv20rocsparse_direction_iiiNS_24const_host_device_scalarIT1_EEPKiS6_PKS3_S4_S6_S6_S8_S6_PiPS3_21rocsparse_index_base_SB_SB_b.uses_flat_scratch, 0
	.set _ZN9rocsparseL35bsrgeam_wf_per_row_multipass_kernelILj64ELj8EfEEv20rocsparse_direction_iiiNS_24const_host_device_scalarIT1_EEPKiS6_PKS3_S4_S6_S6_S8_S6_PiPS3_21rocsparse_index_base_SB_SB_b.has_dyn_sized_stack, 0
	.set _ZN9rocsparseL35bsrgeam_wf_per_row_multipass_kernelILj64ELj8EfEEv20rocsparse_direction_iiiNS_24const_host_device_scalarIT1_EEPKiS6_PKS3_S4_S6_S6_S8_S6_PiPS3_21rocsparse_index_base_SB_SB_b.has_recursion, 0
	.set _ZN9rocsparseL35bsrgeam_wf_per_row_multipass_kernelILj64ELj8EfEEv20rocsparse_direction_iiiNS_24const_host_device_scalarIT1_EEPKiS6_PKS3_S4_S6_S6_S8_S6_PiPS3_21rocsparse_index_base_SB_SB_b.has_indirect_call, 0
	.section	.AMDGPU.csdata,"",@progbits
; Kernel info:
; codeLenInByte = 2328
; TotalNumSgprs: 30
; NumVgprs: 27
; ScratchSize: 0
; MemoryBound: 0
; FloatMode: 240
; IeeeMode: 1
; LDSByteSize: 264 bytes/workgroup (compile time only)
; SGPRBlocks: 0
; VGPRBlocks: 3
; NumSGPRsForWavesPerEU: 30
; NumVGPRsForWavesPerEU: 27
; Occupancy: 16
; WaveLimiterHint : 0
; COMPUTE_PGM_RSRC2:SCRATCH_EN: 0
; COMPUTE_PGM_RSRC2:USER_SGPR: 2
; COMPUTE_PGM_RSRC2:TRAP_HANDLER: 0
; COMPUTE_PGM_RSRC2:TGID_X_EN: 1
; COMPUTE_PGM_RSRC2:TGID_Y_EN: 0
; COMPUTE_PGM_RSRC2:TGID_Z_EN: 0
; COMPUTE_PGM_RSRC2:TIDIG_COMP_CNT: 0
	.section	.text._ZN9rocsparseL39bsrgeam_block_per_row_multipass_kernel2ILj256ELj16EfEEv20rocsparse_direction_iiiNS_24const_host_device_scalarIT1_EEPKiS6_PKS3_S4_S6_S6_S8_S6_PiPS3_21rocsparse_index_base_SB_SB_b,"axG",@progbits,_ZN9rocsparseL39bsrgeam_block_per_row_multipass_kernel2ILj256ELj16EfEEv20rocsparse_direction_iiiNS_24const_host_device_scalarIT1_EEPKiS6_PKS3_S4_S6_S6_S8_S6_PiPS3_21rocsparse_index_base_SB_SB_b,comdat
	.globl	_ZN9rocsparseL39bsrgeam_block_per_row_multipass_kernel2ILj256ELj16EfEEv20rocsparse_direction_iiiNS_24const_host_device_scalarIT1_EEPKiS6_PKS3_S4_S6_S6_S8_S6_PiPS3_21rocsparse_index_base_SB_SB_b ; -- Begin function _ZN9rocsparseL39bsrgeam_block_per_row_multipass_kernel2ILj256ELj16EfEEv20rocsparse_direction_iiiNS_24const_host_device_scalarIT1_EEPKiS6_PKS3_S4_S6_S6_S8_S6_PiPS3_21rocsparse_index_base_SB_SB_b
	.p2align	8
	.type	_ZN9rocsparseL39bsrgeam_block_per_row_multipass_kernel2ILj256ELj16EfEEv20rocsparse_direction_iiiNS_24const_host_device_scalarIT1_EEPKiS6_PKS3_S4_S6_S6_S8_S6_PiPS3_21rocsparse_index_base_SB_SB_b,@function
_ZN9rocsparseL39bsrgeam_block_per_row_multipass_kernel2ILj256ELj16EfEEv20rocsparse_direction_iiiNS_24const_host_device_scalarIT1_EEPKiS6_PKS3_S4_S6_S6_S8_S6_PiPS3_21rocsparse_index_base_SB_SB_b: ; @_ZN9rocsparseL39bsrgeam_block_per_row_multipass_kernel2ILj256ELj16EfEEv20rocsparse_direction_iiiNS_24const_host_device_scalarIT1_EEPKiS6_PKS3_S4_S6_S6_S8_S6_PiPS3_21rocsparse_index_base_SB_SB_b
; %bb.0:
	s_clause 0x2
	s_load_b128 s[4:7], s[0:1], 0x68
	s_load_b64 s[2:3], s[0:1], 0x10
	s_load_b64 s[12:13], s[0:1], 0x30
	s_wait_kmcnt 0x0
	s_bitcmp1_b32 s7, 0
	s_cselect_b32 s7, -1, 0
	s_delay_alu instid0(SALU_CYCLE_1)
	s_and_b32 vcc_lo, exec_lo, s7
	s_xor_b32 s7, s7, -1
	s_cbranch_vccnz .LBB6_2
; %bb.1:
	s_load_b32 s2, s[2:3], 0x0
.LBB6_2:
	s_clause 0x2
	s_load_b64 s[8:9], s[0:1], 0x50
	s_load_b64 s[14:15], s[0:1], 0x18
	;; [unrolled: 1-line block ×3, first 2 shown]
	s_and_not1_b32 vcc_lo, exec_lo, s7
	s_cbranch_vccnz .LBB6_4
; %bb.3:
	s_load_b32 s12, s[12:13], 0x0
.LBB6_4:
	s_mov_b32 s16, ttmp9
	s_ashr_i32 s17, ttmp9, 31
	s_delay_alu instid0(SALU_CYCLE_1)
	s_lshl_b64 s[20:21], s[16:17], 2
	s_wait_kmcnt 0x0
	s_add_nc_u64 s[14:15], s[14:15], s[20:21]
	s_add_nc_u64 s[10:11], s[10:11], s[20:21]
	s_load_b64 s[28:29], s[14:15], 0x0
	s_clause 0x1
	s_load_b64 s[14:15], s[0:1], 0x8
	s_load_b64 s[16:17], s[0:1], 0x20
	;; [unrolled: 1-line block ×3, first 2 shown]
	s_add_nc_u64 s[24:25], s[8:9], s[20:21]
	s_wait_kmcnt 0x0
	s_mov_b32 s13, s14
	s_sub_co_i32 s18, s28, s4
	s_cmp_ge_i32 s28, s29
	s_cbranch_scc1 .LBB6_6
; %bb.5:
	s_ashr_i32 s19, s18, 31
	s_delay_alu instid0(SALU_CYCLE_1) | instskip(NEXT) | instid1(SALU_CYCLE_1)
	s_lshl_b64 s[8:9], s[18:19], 2
	s_add_nc_u64 s[8:9], s[16:17], s[8:9]
	s_load_b32 s3, s[8:9], 0x0
	s_wait_kmcnt 0x0
	s_sub_co_i32 s13, s3, s4
.LBB6_6:
	s_clause 0x2
	s_load_b64 s[20:21], s[0:1], 0x60
	s_load_b64 s[22:23], s[0:1], 0x28
	s_load_b128 s[8:11], s[0:1], 0x40
	s_load_b32 s19, s[24:25], 0x0
	s_sub_co_i32 s24, s30, s5
	s_cmp_ge_i32 s30, s31
	s_mov_b32 s25, s14
	s_cbranch_scc1 .LBB6_8
; %bb.7:
	s_ashr_i32 s25, s24, 31
	s_delay_alu instid0(SALU_CYCLE_1)
	s_lshl_b64 s[26:27], s[24:25], 2
	s_wait_kmcnt 0x0
	s_add_nc_u64 s[26:27], s[8:9], s[26:27]
	s_load_b32 s3, s[26:27], 0x0
	s_wait_kmcnt 0x0
	s_sub_co_i32 s25, s3, s5
.LBB6_8:
	s_clause 0x1
	s_load_b32 s30, s[0:1], 0x0
	s_load_b64 s[26:27], s[0:1], 0x58
	v_dual_mov_b32 v4, 0 :: v_dual_and_b32 v1, 15, v0
	v_lshrrev_b32_e32 v2, 4, v0
	s_sub_co_i32 s3, s29, s4
	s_sub_co_i32 s7, s31, s5
	s_delay_alu instid0(VALU_DEP_2)
	v_cmp_gt_u32_e32 vcc_lo, s15, v1
	v_lshlrev_b32_e32 v5, 6, v1
	v_dual_mov_b32 v8, 1 :: v_dual_lshlrev_b32 v3, 2, v2
	v_cmp_gt_i32_e64 s0, s15, v2
	s_wait_kmcnt 0x0
	s_sub_co_i32 s28, s19, s6
	s_min_i32 s29, s25, s13
	v_lshlrev_b32_e32 v0, 2, v0
	v_add_nc_u32_e32 v9, v3, v5
	s_and_b32 s13, vcc_lo, s0
	s_mul_i32 s31, s15, s15
	s_cmp_lg_u32 s30, 0
	s_cselect_b32 s30, -1, 0
	s_branch .LBB6_11
.LBB6_9:                                ;   in Loop: Header=BB6_11 Depth=1
	s_wait_alu 0xfffe
	s_or_b32 exec_lo, exec_lo, s0
.LBB6_10:                               ;   in Loop: Header=BB6_11 Depth=1
	s_wait_loadcnt 0x0
	s_wait_storecnt 0x0
	s_barrier_signal -1
	s_barrier_wait -1
	global_inv scope:SCOPE_SE
	ds_load_b32 v3, v4 offset:1024
	s_wait_alu 0xfffe
	s_mov_b32 s29, s25
	s_wait_loadcnt_dscnt 0x0
	s_barrier_signal -1
	s_barrier_wait -1
	global_inv scope:SCOPE_SE
	v_readfirstlane_b32 s0, v3
	s_add_co_i32 s28, s0, s28
	s_cmp_lt_i32 s25, s14
	s_cbranch_scc0 .LBB6_49
.LBB6_11:                               ; =>This Loop Header: Depth=1
                                        ;     Child Loop BB6_13 Depth 2
                                        ;     Child Loop BB6_29 Depth 2
	s_cmp_ge_i32 s18, s3
	ds_store_b32 v4, v4 offset:1024
	ds_store_b32 v0, v4
	s_wait_dscnt 0x0
	s_barrier_signal -1
	s_barrier_wait -1
	global_inv scope:SCOPE_SE
	s_cbranch_scc1 .LBB6_26
; %bb.12:                               ;   in Loop: Header=BB6_11 Depth=1
	s_mul_i32 s0, s15, s18
	s_ashr_i32 s19, s18, 31
	s_wait_alu 0xfffe
	v_add_nc_u32_e32 v3, s0, v2
	v_add_nc_u32_e32 v7, s0, v1
	s_lshl_b64 s[0:1], s[18:19], 2
	s_mov_b32 s25, 0
	s_wait_alu 0xfffe
	s_add_nc_u64 s[0:1], s[16:17], s[0:1]
	v_mad_co_u64_u32 v[5:6], null, s15, v3, v[1:2]
	v_mad_co_u64_u32 v[6:7], null, s15, v7, v[2:3]
	s_mov_b32 s33, s14
.LBB6_13:                               ;   Parent Loop BB6_11 Depth=1
                                        ; =>  This Inner Loop Header: Depth=2
	s_load_b32 s19, s[0:1], 0x0
	s_mov_b32 s35, -1
	s_wait_kmcnt 0x0
	s_sub_co_i32 s36, s19, s4
                                        ; implicit-def: $sgpr19
	s_delay_alu instid0(SALU_CYCLE_1)
	s_cmp_eq_u32 s36, s29
	s_cselect_b32 s34, -1, 0
	s_cmp_lg_u32 s36, s29
	s_cbranch_scc1 .LBB6_17
; %bb.14:                               ;   in Loop: Header=BB6_13 Depth=2
	s_and_not1_b32 vcc_lo, exec_lo, s35
	s_wait_alu 0xfffe
	s_cbranch_vccz .LBB6_18
.LBB6_15:                               ;   in Loop: Header=BB6_13 Depth=2
	s_and_not1_b32 vcc_lo, exec_lo, s34
	s_mov_b32 s33, -1
	s_wait_alu 0xfffe
	s_cbranch_vccnz .LBB6_23
.LBB6_16:                               ;   in Loop: Header=BB6_13 Depth=2
	s_add_co_i32 s18, s18, 1
	s_add_co_i32 s25, s25, s31
	s_cmp_ge_i32 s18, s3
	s_add_nc_u64 s[0:1], s[0:1], 4
	s_cselect_b32 s33, -1, 0
	s_wait_alu 0xfffe
	s_and_not1_b32 vcc_lo, exec_lo, s33
	s_wait_alu 0xfffe
	s_cbranch_vccnz .LBB6_24
	s_branch .LBB6_27
.LBB6_17:                               ;   in Loop: Header=BB6_13 Depth=2
	s_min_i32 s19, s36, s33
	s_cbranch_execnz .LBB6_15
.LBB6_18:                               ;   in Loop: Header=BB6_13 Depth=2
	ds_store_b32 v4, v8 offset:1024
	s_and_saveexec_b32 s19, s13
	s_cbranch_execz .LBB6_22
; %bb.19:                               ;   in Loop: Header=BB6_13 Depth=2
	s_and_b32 vcc_lo, exec_lo, s30
	s_wait_alu 0xfffe
	s_cbranch_vccz .LBB6_25
; %bb.20:                               ;   in Loop: Header=BB6_13 Depth=2
	v_add_nc_u32_e32 v3, s25, v6
	s_delay_alu instid0(VALU_DEP_1) | instskip(NEXT) | instid1(VALU_DEP_1)
	v_lshlrev_b64_e32 v[10:11], 2, v[3:4]
	v_add_co_u32 v10, vcc_lo, s22, v10
	s_wait_alu 0xfffd
	s_delay_alu instid0(VALU_DEP_2)
	v_add_co_ci_u32_e64 v11, null, s23, v11, vcc_lo
	global_load_b32 v3, v[10:11], off
	s_wait_loadcnt 0x0
	v_mul_f32_e32 v3, s2, v3
	ds_store_b32 v9, v3
	s_cbranch_execnz .LBB6_22
.LBB6_21:                               ;   in Loop: Header=BB6_13 Depth=2
	v_add_nc_u32_e32 v3, s25, v5
	s_delay_alu instid0(VALU_DEP_1) | instskip(NEXT) | instid1(VALU_DEP_1)
	v_lshlrev_b64_e32 v[10:11], 2, v[3:4]
	v_add_co_u32 v10, vcc_lo, s22, v10
	s_wait_alu 0xfffd
	s_delay_alu instid0(VALU_DEP_2)
	v_add_co_ci_u32_e64 v11, null, s23, v11, vcc_lo
	global_load_b32 v3, v[10:11], off
	s_wait_loadcnt 0x0
	v_mul_f32_e32 v3, s2, v3
	ds_store_b32 v0, v3
.LBB6_22:                               ;   in Loop: Header=BB6_13 Depth=2
	s_or_b32 exec_lo, exec_lo, s19
	s_mov_b32 s19, s33
	s_and_not1_b32 vcc_lo, exec_lo, s34
	s_mov_b32 s33, -1
	s_wait_alu 0xfffe
	s_cbranch_vccz .LBB6_16
.LBB6_23:                               ;   in Loop: Header=BB6_13 Depth=2
                                        ; implicit-def: $sgpr25
                                        ; implicit-def: $sgpr0_sgpr1
	s_and_not1_b32 vcc_lo, exec_lo, s33
	s_wait_alu 0xfffe
	s_cbranch_vccz .LBB6_27
.LBB6_24:                               ;   in Loop: Header=BB6_13 Depth=2
	s_mov_b32 s33, s19
	s_branch .LBB6_13
.LBB6_25:                               ;   in Loop: Header=BB6_13 Depth=2
	s_branch .LBB6_21
.LBB6_26:                               ;   in Loop: Header=BB6_11 Depth=1
	s_mov_b32 s19, s14
.LBB6_27:                               ;   in Loop: Header=BB6_11 Depth=1
	s_cmp_ge_i32 s24, s7
	s_wait_loadcnt_dscnt 0x0
	s_barrier_signal -1
	s_barrier_wait -1
	global_inv scope:SCOPE_SE
	s_cbranch_scc1 .LBB6_42
; %bb.28:                               ;   in Loop: Header=BB6_11 Depth=1
	s_mul_i32 s0, s15, s24
	s_ashr_i32 s25, s24, 31
	s_wait_alu 0xfffe
	v_add_nc_u32_e32 v3, s0, v2
	v_add_nc_u32_e32 v7, s0, v1
	s_lshl_b64 s[0:1], s[24:25], 2
	s_mov_b32 s33, 0
	s_wait_alu 0xfffe
	s_add_nc_u64 s[0:1], s[8:9], s[0:1]
	v_mad_co_u64_u32 v[5:6], null, s15, v3, v[1:2]
	v_mad_co_u64_u32 v[6:7], null, s15, v7, v[2:3]
.LBB6_29:                               ;   Parent Loop BB6_11 Depth=1
                                        ; =>  This Inner Loop Header: Depth=2
	s_load_b32 s25, s[0:1], 0x0
	s_mov_b32 s35, -1
	s_wait_kmcnt 0x0
	s_sub_co_i32 s36, s25, s5
                                        ; implicit-def: $sgpr25
	s_delay_alu instid0(SALU_CYCLE_1)
	s_cmp_eq_u32 s36, s29
	s_cselect_b32 s34, -1, 0
	s_cmp_lg_u32 s36, s29
	s_cbranch_scc1 .LBB6_33
; %bb.30:                               ;   in Loop: Header=BB6_29 Depth=2
	s_and_not1_b32 vcc_lo, exec_lo, s35
	s_wait_alu 0xfffe
	s_cbranch_vccz .LBB6_34
.LBB6_31:                               ;   in Loop: Header=BB6_29 Depth=2
	s_and_not1_b32 vcc_lo, exec_lo, s34
	s_mov_b32 s19, -1
	s_wait_alu 0xfffe
	s_cbranch_vccnz .LBB6_39
.LBB6_32:                               ;   in Loop: Header=BB6_29 Depth=2
	s_add_co_i32 s24, s24, 1
	s_add_co_i32 s33, s33, s31
	s_wait_alu 0xfffe
	s_cmp_ge_i32 s24, s7
	s_add_nc_u64 s[0:1], s[0:1], 4
	s_cselect_b32 s19, -1, 0
	s_delay_alu instid0(SALU_CYCLE_1)
	s_and_not1_b32 vcc_lo, exec_lo, s19
	s_wait_alu 0xfffe
	s_cbranch_vccnz .LBB6_40
	s_branch .LBB6_43
.LBB6_33:                               ;   in Loop: Header=BB6_29 Depth=2
	s_min_i32 s25, s36, s19
	s_cbranch_execnz .LBB6_31
.LBB6_34:                               ;   in Loop: Header=BB6_29 Depth=2
	ds_store_b32 v4, v8 offset:1024
	s_and_saveexec_b32 s25, s13
	s_cbranch_execz .LBB6_38
; %bb.35:                               ;   in Loop: Header=BB6_29 Depth=2
	s_and_b32 vcc_lo, exec_lo, s30
	s_wait_alu 0xfffe
	s_cbranch_vccz .LBB6_41
; %bb.36:                               ;   in Loop: Header=BB6_29 Depth=2
	v_add_nc_u32_e32 v3, s33, v6
	ds_load_b32 v7, v9
	v_lshlrev_b64_e32 v[10:11], 2, v[3:4]
	s_delay_alu instid0(VALU_DEP_1) | instskip(SKIP_1) | instid1(VALU_DEP_2)
	v_add_co_u32 v10, vcc_lo, s10, v10
	s_wait_alu 0xfffd
	v_add_co_ci_u32_e64 v11, null, s11, v11, vcc_lo
	global_load_b32 v3, v[10:11], off
	s_wait_loadcnt_dscnt 0x0
	v_fmac_f32_e32 v7, s12, v3
	ds_store_b32 v9, v7
	s_cbranch_execnz .LBB6_38
.LBB6_37:                               ;   in Loop: Header=BB6_29 Depth=2
	v_add_nc_u32_e32 v3, s33, v5
	ds_load_b32 v7, v0
	v_lshlrev_b64_e32 v[10:11], 2, v[3:4]
	s_delay_alu instid0(VALU_DEP_1) | instskip(SKIP_1) | instid1(VALU_DEP_2)
	v_add_co_u32 v10, vcc_lo, s10, v10
	s_wait_alu 0xfffd
	v_add_co_ci_u32_e64 v11, null, s11, v11, vcc_lo
	global_load_b32 v3, v[10:11], off
	s_wait_loadcnt_dscnt 0x0
	v_fmac_f32_e32 v7, s12, v3
	ds_store_b32 v0, v7
.LBB6_38:                               ;   in Loop: Header=BB6_29 Depth=2
	s_wait_alu 0xfffe
	s_or_b32 exec_lo, exec_lo, s25
	s_mov_b32 s25, s19
	s_and_not1_b32 vcc_lo, exec_lo, s34
	s_mov_b32 s19, -1
	s_wait_alu 0xfffe
	s_cbranch_vccz .LBB6_32
.LBB6_39:                               ;   in Loop: Header=BB6_29 Depth=2
                                        ; implicit-def: $sgpr33
                                        ; implicit-def: $sgpr0_sgpr1
	s_and_not1_b32 vcc_lo, exec_lo, s19
	s_wait_alu 0xfffe
	s_cbranch_vccz .LBB6_43
.LBB6_40:                               ;   in Loop: Header=BB6_29 Depth=2
	s_mov_b32 s19, s25
	s_branch .LBB6_29
.LBB6_41:                               ;   in Loop: Header=BB6_29 Depth=2
	s_branch .LBB6_37
.LBB6_42:                               ;   in Loop: Header=BB6_11 Depth=1
	s_mov_b32 s25, s19
.LBB6_43:                               ;   in Loop: Header=BB6_11 Depth=1
	s_wait_loadcnt_dscnt 0x0
	s_barrier_signal -1
	s_barrier_wait -1
	global_inv scope:SCOPE_SE
	ds_load_b32 v3, v4 offset:1024
	s_wait_dscnt 0x0
	v_cmp_eq_u32_e32 vcc_lo, 0, v3
	s_cbranch_vccnz .LBB6_10
; %bb.44:                               ;   in Loop: Header=BB6_11 Depth=1
	s_add_co_i32 s0, s29, s6
	s_ashr_i32 s29, s28, 31
	s_wait_alu 0xfffe
	v_mov_b32_e32 v3, s0
	s_lshl_b64 s[0:1], s[28:29], 2
	s_wait_alu 0xfffe
	s_add_nc_u64 s[0:1], s[26:27], s[0:1]
	global_store_b32 v4, v3, s[0:1]
	s_and_saveexec_b32 s0, s13
	s_cbranch_execz .LBB6_9
; %bb.45:                               ;   in Loop: Header=BB6_11 Depth=1
	s_and_b32 vcc_lo, exec_lo, s30
	s_mul_i32 s1, s28, s15
	s_wait_alu 0xfffe
	s_cbranch_vccz .LBB6_47
; %bb.46:                               ;   in Loop: Header=BB6_11 Depth=1
	v_add_nc_u32_e32 v3, s1, v1
	s_delay_alu instid0(VALU_DEP_1) | instskip(SKIP_2) | instid1(VALU_DEP_1)
	v_mad_co_u64_u32 v[5:6], null, v3, s15, v[2:3]
	ds_load_b32 v3, v9
	v_mov_b32_e32 v6, v4
	v_lshlrev_b64_e32 v[5:6], 2, v[5:6]
	s_delay_alu instid0(VALU_DEP_1) | instskip(SKIP_1) | instid1(VALU_DEP_2)
	v_add_co_u32 v5, vcc_lo, s20, v5
	s_wait_alu 0xfffd
	v_add_co_ci_u32_e64 v6, null, s21, v6, vcc_lo
	s_wait_dscnt 0x0
	global_store_b32 v[5:6], v3, off
	s_cbranch_execnz .LBB6_9
	s_branch .LBB6_48
.LBB6_47:                               ;   in Loop: Header=BB6_11 Depth=1
.LBB6_48:                               ;   in Loop: Header=BB6_11 Depth=1
	v_add_nc_u32_e32 v3, s1, v2
	s_delay_alu instid0(VALU_DEP_1) | instskip(SKIP_2) | instid1(VALU_DEP_1)
	v_mad_co_u64_u32 v[5:6], null, v3, s15, v[1:2]
	ds_load_b32 v3, v0
	v_mov_b32_e32 v6, v4
	v_lshlrev_b64_e32 v[5:6], 2, v[5:6]
	s_delay_alu instid0(VALU_DEP_1) | instskip(SKIP_1) | instid1(VALU_DEP_2)
	v_add_co_u32 v5, vcc_lo, s20, v5
	s_wait_alu 0xfffd
	v_add_co_ci_u32_e64 v6, null, s21, v6, vcc_lo
	s_wait_dscnt 0x0
	global_store_b32 v[5:6], v3, off
	s_branch .LBB6_9
.LBB6_49:
	s_endpgm
	.section	.rodata,"a",@progbits
	.p2align	6, 0x0
	.amdhsa_kernel _ZN9rocsparseL39bsrgeam_block_per_row_multipass_kernel2ILj256ELj16EfEEv20rocsparse_direction_iiiNS_24const_host_device_scalarIT1_EEPKiS6_PKS3_S4_S6_S6_S8_S6_PiPS3_21rocsparse_index_base_SB_SB_b
		.amdhsa_group_segment_fixed_size 1028
		.amdhsa_private_segment_fixed_size 0
		.amdhsa_kernarg_size 120
		.amdhsa_user_sgpr_count 2
		.amdhsa_user_sgpr_dispatch_ptr 0
		.amdhsa_user_sgpr_queue_ptr 0
		.amdhsa_user_sgpr_kernarg_segment_ptr 1
		.amdhsa_user_sgpr_dispatch_id 0
		.amdhsa_user_sgpr_private_segment_size 0
		.amdhsa_wavefront_size32 1
		.amdhsa_uses_dynamic_stack 0
		.amdhsa_enable_private_segment 0
		.amdhsa_system_sgpr_workgroup_id_x 1
		.amdhsa_system_sgpr_workgroup_id_y 0
		.amdhsa_system_sgpr_workgroup_id_z 0
		.amdhsa_system_sgpr_workgroup_info 0
		.amdhsa_system_vgpr_workitem_id 0
		.amdhsa_next_free_vgpr 12
		.amdhsa_next_free_sgpr 37
		.amdhsa_reserve_vcc 1
		.amdhsa_float_round_mode_32 0
		.amdhsa_float_round_mode_16_64 0
		.amdhsa_float_denorm_mode_32 3
		.amdhsa_float_denorm_mode_16_64 3
		.amdhsa_fp16_overflow 0
		.amdhsa_workgroup_processor_mode 1
		.amdhsa_memory_ordered 1
		.amdhsa_forward_progress 1
		.amdhsa_inst_pref_size 13
		.amdhsa_round_robin_scheduling 0
		.amdhsa_exception_fp_ieee_invalid_op 0
		.amdhsa_exception_fp_denorm_src 0
		.amdhsa_exception_fp_ieee_div_zero 0
		.amdhsa_exception_fp_ieee_overflow 0
		.amdhsa_exception_fp_ieee_underflow 0
		.amdhsa_exception_fp_ieee_inexact 0
		.amdhsa_exception_int_div_zero 0
	.end_amdhsa_kernel
	.section	.text._ZN9rocsparseL39bsrgeam_block_per_row_multipass_kernel2ILj256ELj16EfEEv20rocsparse_direction_iiiNS_24const_host_device_scalarIT1_EEPKiS6_PKS3_S4_S6_S6_S8_S6_PiPS3_21rocsparse_index_base_SB_SB_b,"axG",@progbits,_ZN9rocsparseL39bsrgeam_block_per_row_multipass_kernel2ILj256ELj16EfEEv20rocsparse_direction_iiiNS_24const_host_device_scalarIT1_EEPKiS6_PKS3_S4_S6_S6_S8_S6_PiPS3_21rocsparse_index_base_SB_SB_b,comdat
.Lfunc_end6:
	.size	_ZN9rocsparseL39bsrgeam_block_per_row_multipass_kernel2ILj256ELj16EfEEv20rocsparse_direction_iiiNS_24const_host_device_scalarIT1_EEPKiS6_PKS3_S4_S6_S6_S8_S6_PiPS3_21rocsparse_index_base_SB_SB_b, .Lfunc_end6-_ZN9rocsparseL39bsrgeam_block_per_row_multipass_kernel2ILj256ELj16EfEEv20rocsparse_direction_iiiNS_24const_host_device_scalarIT1_EEPKiS6_PKS3_S4_S6_S6_S8_S6_PiPS3_21rocsparse_index_base_SB_SB_b
                                        ; -- End function
	.set _ZN9rocsparseL39bsrgeam_block_per_row_multipass_kernel2ILj256ELj16EfEEv20rocsparse_direction_iiiNS_24const_host_device_scalarIT1_EEPKiS6_PKS3_S4_S6_S6_S8_S6_PiPS3_21rocsparse_index_base_SB_SB_b.num_vgpr, 12
	.set _ZN9rocsparseL39bsrgeam_block_per_row_multipass_kernel2ILj256ELj16EfEEv20rocsparse_direction_iiiNS_24const_host_device_scalarIT1_EEPKiS6_PKS3_S4_S6_S6_S8_S6_PiPS3_21rocsparse_index_base_SB_SB_b.num_agpr, 0
	.set _ZN9rocsparseL39bsrgeam_block_per_row_multipass_kernel2ILj256ELj16EfEEv20rocsparse_direction_iiiNS_24const_host_device_scalarIT1_EEPKiS6_PKS3_S4_S6_S6_S8_S6_PiPS3_21rocsparse_index_base_SB_SB_b.numbered_sgpr, 37
	.set _ZN9rocsparseL39bsrgeam_block_per_row_multipass_kernel2ILj256ELj16EfEEv20rocsparse_direction_iiiNS_24const_host_device_scalarIT1_EEPKiS6_PKS3_S4_S6_S6_S8_S6_PiPS3_21rocsparse_index_base_SB_SB_b.num_named_barrier, 0
	.set _ZN9rocsparseL39bsrgeam_block_per_row_multipass_kernel2ILj256ELj16EfEEv20rocsparse_direction_iiiNS_24const_host_device_scalarIT1_EEPKiS6_PKS3_S4_S6_S6_S8_S6_PiPS3_21rocsparse_index_base_SB_SB_b.private_seg_size, 0
	.set _ZN9rocsparseL39bsrgeam_block_per_row_multipass_kernel2ILj256ELj16EfEEv20rocsparse_direction_iiiNS_24const_host_device_scalarIT1_EEPKiS6_PKS3_S4_S6_S6_S8_S6_PiPS3_21rocsparse_index_base_SB_SB_b.uses_vcc, 1
	.set _ZN9rocsparseL39bsrgeam_block_per_row_multipass_kernel2ILj256ELj16EfEEv20rocsparse_direction_iiiNS_24const_host_device_scalarIT1_EEPKiS6_PKS3_S4_S6_S6_S8_S6_PiPS3_21rocsparse_index_base_SB_SB_b.uses_flat_scratch, 0
	.set _ZN9rocsparseL39bsrgeam_block_per_row_multipass_kernel2ILj256ELj16EfEEv20rocsparse_direction_iiiNS_24const_host_device_scalarIT1_EEPKiS6_PKS3_S4_S6_S6_S8_S6_PiPS3_21rocsparse_index_base_SB_SB_b.has_dyn_sized_stack, 0
	.set _ZN9rocsparseL39bsrgeam_block_per_row_multipass_kernel2ILj256ELj16EfEEv20rocsparse_direction_iiiNS_24const_host_device_scalarIT1_EEPKiS6_PKS3_S4_S6_S6_S8_S6_PiPS3_21rocsparse_index_base_SB_SB_b.has_recursion, 0
	.set _ZN9rocsparseL39bsrgeam_block_per_row_multipass_kernel2ILj256ELj16EfEEv20rocsparse_direction_iiiNS_24const_host_device_scalarIT1_EEPKiS6_PKS3_S4_S6_S6_S8_S6_PiPS3_21rocsparse_index_base_SB_SB_b.has_indirect_call, 0
	.section	.AMDGPU.csdata,"",@progbits
; Kernel info:
; codeLenInByte = 1644
; TotalNumSgprs: 39
; NumVgprs: 12
; ScratchSize: 0
; MemoryBound: 0
; FloatMode: 240
; IeeeMode: 1
; LDSByteSize: 1028 bytes/workgroup (compile time only)
; SGPRBlocks: 0
; VGPRBlocks: 1
; NumSGPRsForWavesPerEU: 39
; NumVGPRsForWavesPerEU: 12
; Occupancy: 16
; WaveLimiterHint : 1
; COMPUTE_PGM_RSRC2:SCRATCH_EN: 0
; COMPUTE_PGM_RSRC2:USER_SGPR: 2
; COMPUTE_PGM_RSRC2:TRAP_HANDLER: 0
; COMPUTE_PGM_RSRC2:TGID_X_EN: 1
; COMPUTE_PGM_RSRC2:TGID_Y_EN: 0
; COMPUTE_PGM_RSRC2:TGID_Z_EN: 0
; COMPUTE_PGM_RSRC2:TIDIG_COMP_CNT: 0
	.section	.text._ZN9rocsparseL39bsrgeam_block_per_row_multipass_kernel2ILj256ELj32EfEEv20rocsparse_direction_iiiNS_24const_host_device_scalarIT1_EEPKiS6_PKS3_S4_S6_S6_S8_S6_PiPS3_21rocsparse_index_base_SB_SB_b,"axG",@progbits,_ZN9rocsparseL39bsrgeam_block_per_row_multipass_kernel2ILj256ELj32EfEEv20rocsparse_direction_iiiNS_24const_host_device_scalarIT1_EEPKiS6_PKS3_S4_S6_S6_S8_S6_PiPS3_21rocsparse_index_base_SB_SB_b,comdat
	.globl	_ZN9rocsparseL39bsrgeam_block_per_row_multipass_kernel2ILj256ELj32EfEEv20rocsparse_direction_iiiNS_24const_host_device_scalarIT1_EEPKiS6_PKS3_S4_S6_S6_S8_S6_PiPS3_21rocsparse_index_base_SB_SB_b ; -- Begin function _ZN9rocsparseL39bsrgeam_block_per_row_multipass_kernel2ILj256ELj32EfEEv20rocsparse_direction_iiiNS_24const_host_device_scalarIT1_EEPKiS6_PKS3_S4_S6_S6_S8_S6_PiPS3_21rocsparse_index_base_SB_SB_b
	.p2align	8
	.type	_ZN9rocsparseL39bsrgeam_block_per_row_multipass_kernel2ILj256ELj32EfEEv20rocsparse_direction_iiiNS_24const_host_device_scalarIT1_EEPKiS6_PKS3_S4_S6_S6_S8_S6_PiPS3_21rocsparse_index_base_SB_SB_b,@function
_ZN9rocsparseL39bsrgeam_block_per_row_multipass_kernel2ILj256ELj32EfEEv20rocsparse_direction_iiiNS_24const_host_device_scalarIT1_EEPKiS6_PKS3_S4_S6_S6_S8_S6_PiPS3_21rocsparse_index_base_SB_SB_b: ; @_ZN9rocsparseL39bsrgeam_block_per_row_multipass_kernel2ILj256ELj32EfEEv20rocsparse_direction_iiiNS_24const_host_device_scalarIT1_EEPKiS6_PKS3_S4_S6_S6_S8_S6_PiPS3_21rocsparse_index_base_SB_SB_b
; %bb.0:
	s_clause 0x2
	s_load_b128 s[4:7], s[0:1], 0x68
	s_load_b64 s[2:3], s[0:1], 0x10
	s_load_b64 s[12:13], s[0:1], 0x30
	s_wait_kmcnt 0x0
	s_bitcmp1_b32 s7, 0
	s_cselect_b32 s7, -1, 0
	s_delay_alu instid0(SALU_CYCLE_1)
	s_and_b32 vcc_lo, exec_lo, s7
	s_xor_b32 s7, s7, -1
	s_cbranch_vccnz .LBB7_2
; %bb.1:
	s_load_b32 s2, s[2:3], 0x0
.LBB7_2:
	s_clause 0x2
	s_load_b64 s[8:9], s[0:1], 0x50
	s_load_b64 s[14:15], s[0:1], 0x18
	;; [unrolled: 1-line block ×3, first 2 shown]
	s_and_not1_b32 vcc_lo, exec_lo, s7
	s_cbranch_vccnz .LBB7_4
; %bb.3:
	s_load_b32 s12, s[12:13], 0x0
.LBB7_4:
	s_mov_b32 s16, ttmp9
	s_ashr_i32 s17, ttmp9, 31
	s_delay_alu instid0(SALU_CYCLE_1)
	s_lshl_b64 s[20:21], s[16:17], 2
	s_wait_kmcnt 0x0
	s_add_nc_u64 s[14:15], s[14:15], s[20:21]
	s_add_nc_u64 s[10:11], s[10:11], s[20:21]
	s_load_b64 s[28:29], s[14:15], 0x0
	s_clause 0x1
	s_load_b64 s[14:15], s[0:1], 0x8
	s_load_b64 s[16:17], s[0:1], 0x20
	;; [unrolled: 1-line block ×3, first 2 shown]
	s_add_nc_u64 s[24:25], s[8:9], s[20:21]
	s_wait_kmcnt 0x0
	s_mov_b32 s13, s14
	s_sub_co_i32 s18, s28, s4
	s_cmp_ge_i32 s28, s29
	s_cbranch_scc1 .LBB7_6
; %bb.5:
	s_ashr_i32 s19, s18, 31
	s_delay_alu instid0(SALU_CYCLE_1) | instskip(NEXT) | instid1(SALU_CYCLE_1)
	s_lshl_b64 s[8:9], s[18:19], 2
	s_add_nc_u64 s[8:9], s[16:17], s[8:9]
	s_load_b32 s3, s[8:9], 0x0
	s_wait_kmcnt 0x0
	s_sub_co_i32 s13, s3, s4
.LBB7_6:
	s_clause 0x2
	s_load_b64 s[20:21], s[0:1], 0x60
	s_load_b64 s[22:23], s[0:1], 0x28
	s_load_b128 s[8:11], s[0:1], 0x40
	s_load_b32 s19, s[24:25], 0x0
	s_sub_co_i32 s24, s30, s5
	s_cmp_ge_i32 s30, s31
	s_mov_b32 s25, s14
	s_cbranch_scc1 .LBB7_8
; %bb.7:
	s_ashr_i32 s25, s24, 31
	s_delay_alu instid0(SALU_CYCLE_1)
	s_lshl_b64 s[26:27], s[24:25], 2
	s_wait_kmcnt 0x0
	s_add_nc_u64 s[26:27], s[8:9], s[26:27]
	s_load_b32 s3, s[26:27], 0x0
	s_wait_kmcnt 0x0
	s_sub_co_i32 s25, s3, s5
.LBB7_8:
	s_clause 0x1
	s_load_b32 s30, s[0:1], 0x0
	s_load_b64 s[26:27], s[0:1], 0x58
	v_lshrrev_b32_e32 v1, 3, v0
	v_dual_mov_b32 v3, 0 :: v_dual_and_b32 v0, 7, v0
	s_sub_co_i32 s3, s29, s4
	s_sub_co_i32 s7, s31, s5
	s_delay_alu instid0(VALU_DEP_2) | instskip(NEXT) | instid1(VALU_DEP_2)
	v_dual_mov_b32 v21, 1 :: v_dual_lshlrev_b32 v2, 7, v1
	v_or_b32_e32 v10, 8, v0
	v_cmp_gt_i32_e32 vcc_lo, s15, v1
	v_cmp_gt_u32_e64 s0, s15, v0
	v_or_b32_e32 v12, 16, v0
	v_or_b32_e32 v17, 24, v0
	v_cmp_gt_u32_e64 s1, s15, v10
	s_wait_kmcnt 0x0
	s_sub_co_i32 s28, s19, s6
	s_min_i32 s29, s25, s13
	v_lshl_or_b32 v11, v0, 2, v2
	v_mad_i32_i24 v2, 0xffffff84, v1, v2
	s_mul_i32 s35, s15, s15
	s_cmp_lg_u32 s30, 0
	s_delay_alu instid0(VALU_DEP_2)
	v_or_b32_e32 v13, 32, v11
	s_cselect_b32 s13, -1, 0
	s_and_b32 s30, vcc_lo, s0
	s_and_b32 s31, vcc_lo, s1
	v_cmp_gt_u32_e64 s0, s15, v12
	v_cmp_gt_u32_e64 s1, s15, v17
	v_or_b32_e32 v14, 64, v11
	v_or_b32_e32 v15, 0x60, v11
	v_lshl_add_u32 v16, v0, 7, v2
	v_lshl_add_u32 v18, v10, 7, v2
	v_lshl_add_u32 v19, v12, 7, v2
	v_lshl_add_u32 v20, v17, 7, v2
	s_and_b32 s33, vcc_lo, s0
	s_and_b32 s34, vcc_lo, s1
	s_branch .LBB7_12
.LBB7_9:                                ;   in Loop: Header=BB7_12 Depth=1
	ds_load_b32 v6, v5
	v_lshlrev_b64_e32 v[4:5], 2, v[2:3]
	s_delay_alu instid0(VALU_DEP_1) | instskip(SKIP_1) | instid1(VALU_DEP_2)
	v_add_co_u32 v4, vcc_lo, s20, v4
	s_wait_alu 0xfffd
	v_add_co_ci_u32_e64 v5, null, s21, v5, vcc_lo
	s_wait_dscnt 0x0
	global_store_b32 v[4:5], v6, off
.LBB7_10:                               ;   in Loop: Header=BB7_12 Depth=1
	s_wait_alu 0xfffe
	s_or_b32 exec_lo, exec_lo, s1
.LBB7_11:                               ;   in Loop: Header=BB7_12 Depth=1
	s_wait_loadcnt 0x0
	s_wait_storecnt 0x0
	s_barrier_signal -1
	s_barrier_wait -1
	global_inv scope:SCOPE_SE
	ds_load_b32 v2, v3 offset:4096
	s_wait_alu 0xfffe
	s_mov_b32 s29, s25
	s_wait_loadcnt_dscnt 0x0
	s_barrier_signal -1
	s_barrier_wait -1
	global_inv scope:SCOPE_SE
	v_readfirstlane_b32 s0, v2
	s_add_co_i32 s28, s0, s28
	s_cmp_lt_i32 s25, s14
	s_cbranch_scc0 .LBB7_98
.LBB7_12:                               ; =>This Loop Header: Depth=1
                                        ;     Child Loop BB7_14 Depth 2
                                        ;     Child Loop BB7_45 Depth 2
	s_cmp_ge_i32 s18, s3
	ds_store_b32 v3, v3 offset:4096
	ds_store_2addr_b32 v11, v3, v3 offset1:8
	ds_store_2addr_b32 v11, v3, v3 offset0:16 offset1:24
	s_wait_dscnt 0x0
	s_barrier_signal -1
	s_barrier_wait -1
	global_inv scope:SCOPE_SE
	s_cbranch_scc1 .LBB7_42
; %bb.13:                               ;   in Loop: Header=BB7_12 Depth=1
	s_mul_i32 s0, s15, s18
	s_ashr_i32 s19, s18, 31
	s_wait_alu 0xfffe
	v_add_nc_u32_e32 v2, s0, v0
	v_add_nc_u32_e32 v6, s0, v10
	;; [unrolled: 1-line block ×4, first 2 shown]
	s_mov_b32 s25, 0
	v_mad_co_u64_u32 v[4:5], null, s15, v2, v[1:2]
	v_mad_co_u64_u32 v[5:6], null, s15, v6, v[1:2]
	v_add_nc_u32_e32 v2, s0, v17
	s_lshl_b64 s[0:1], s[18:19], 2
	s_mov_b32 s36, s14
	s_wait_alu 0xfffe
	s_add_nc_u64 s[0:1], s[16:17], s[0:1]
	v_mad_co_u64_u32 v[6:7], null, s15, v7, v[1:2]
	v_mad_co_u64_u32 v[7:8], null, s15, v2, v[1:2]
	;; [unrolled: 1-line block ×3, first 2 shown]
.LBB7_14:                               ;   Parent Loop BB7_12 Depth=1
                                        ; =>  This Inner Loop Header: Depth=2
	s_load_b32 s19, s[0:1], 0x0
	s_mov_b32 s38, -1
	s_wait_kmcnt 0x0
	s_sub_co_i32 s39, s19, s4
                                        ; implicit-def: $sgpr19
	s_delay_alu instid0(SALU_CYCLE_1)
	s_cmp_eq_u32 s39, s29
	s_cselect_b32 s37, -1, 0
	s_cmp_lg_u32 s39, s29
	s_cbranch_scc1 .LBB7_18
; %bb.15:                               ;   in Loop: Header=BB7_14 Depth=2
	s_and_not1_b32 vcc_lo, exec_lo, s38
	s_wait_alu 0xfffe
	s_cbranch_vccz .LBB7_19
.LBB7_16:                               ;   in Loop: Header=BB7_14 Depth=2
	s_wait_alu 0xfffe
	s_and_not1_b32 vcc_lo, exec_lo, s37
	s_mov_b32 s36, -1
	s_wait_alu 0xfffe
	s_cbranch_vccnz .LBB7_36
.LBB7_17:                               ;   in Loop: Header=BB7_14 Depth=2
	s_add_co_i32 s18, s18, 1
	s_add_co_i32 s25, s25, s35
	s_cmp_ge_i32 s18, s3
	s_add_nc_u64 s[0:1], s[0:1], 4
	s_cselect_b32 s36, -1, 0
	s_wait_alu 0xfffe
	s_and_not1_b32 vcc_lo, exec_lo, s36
	s_wait_alu 0xfffe
	s_cbranch_vccnz .LBB7_37
	s_branch .LBB7_43
.LBB7_18:                               ;   in Loop: Header=BB7_14 Depth=2
	s_min_i32 s19, s39, s36
	s_cbranch_execnz .LBB7_16
.LBB7_19:                               ;   in Loop: Header=BB7_14 Depth=2
	ds_store_b32 v3, v21 offset:4096
	s_and_saveexec_b32 s19, s30
	s_cbranch_execz .LBB7_23
; %bb.20:                               ;   in Loop: Header=BB7_14 Depth=2
	s_and_b32 vcc_lo, exec_lo, s13
	s_wait_alu 0xfffe
	s_cbranch_vccz .LBB7_38
; %bb.21:                               ;   in Loop: Header=BB7_14 Depth=2
	v_add_nc_u32_e32 v2, s25, v4
	s_delay_alu instid0(VALU_DEP_1) | instskip(NEXT) | instid1(VALU_DEP_1)
	v_lshlrev_b64_e32 v[22:23], 2, v[2:3]
	v_add_co_u32 v22, vcc_lo, s22, v22
	s_wait_alu 0xfffd
	s_delay_alu instid0(VALU_DEP_2)
	v_add_co_ci_u32_e64 v23, null, s23, v23, vcc_lo
	global_load_b32 v2, v[22:23], off
	s_wait_loadcnt 0x0
	v_mul_f32_e32 v2, s2, v2
	ds_store_b32 v16, v2
	s_cbranch_execnz .LBB7_23
.LBB7_22:                               ;   in Loop: Header=BB7_14 Depth=2
	v_add_nc_u32_e32 v2, s25, v8
	s_delay_alu instid0(VALU_DEP_1) | instskip(NEXT) | instid1(VALU_DEP_1)
	v_lshlrev_b64_e32 v[22:23], 2, v[2:3]
	v_add_co_u32 v22, vcc_lo, s22, v22
	s_wait_alu 0xfffd
	s_delay_alu instid0(VALU_DEP_2)
	v_add_co_ci_u32_e64 v23, null, s23, v23, vcc_lo
	global_load_b32 v2, v[22:23], off
	s_wait_loadcnt 0x0
	v_mul_f32_e32 v2, s2, v2
	ds_store_b32 v11, v2
.LBB7_23:                               ;   in Loop: Header=BB7_14 Depth=2
	s_or_b32 exec_lo, exec_lo, s19
	s_and_saveexec_b32 s19, s31
	s_cbranch_execz .LBB7_27
; %bb.24:                               ;   in Loop: Header=BB7_14 Depth=2
	s_and_not1_b32 vcc_lo, exec_lo, s13
	s_wait_alu 0xfffe
	s_cbranch_vccnz .LBB7_39
; %bb.25:                               ;   in Loop: Header=BB7_14 Depth=2
	v_add_nc_u32_e32 v2, s25, v5
	s_delay_alu instid0(VALU_DEP_1) | instskip(NEXT) | instid1(VALU_DEP_1)
	v_lshlrev_b64_e32 v[22:23], 2, v[2:3]
	v_add_co_u32 v22, vcc_lo, s22, v22
	s_wait_alu 0xfffd
	s_delay_alu instid0(VALU_DEP_2)
	v_add_co_ci_u32_e64 v23, null, s23, v23, vcc_lo
	global_load_b32 v2, v[22:23], off
	s_wait_loadcnt 0x0
	v_mul_f32_e32 v2, s2, v2
	ds_store_b32 v18, v2
	s_cbranch_execnz .LBB7_27
.LBB7_26:                               ;   in Loop: Header=BB7_14 Depth=2
	v_add3_u32 v2, v8, s25, 8
	s_delay_alu instid0(VALU_DEP_1) | instskip(NEXT) | instid1(VALU_DEP_1)
	v_lshlrev_b64_e32 v[22:23], 2, v[2:3]
	v_add_co_u32 v22, vcc_lo, s22, v22
	s_wait_alu 0xfffd
	s_delay_alu instid0(VALU_DEP_2)
	v_add_co_ci_u32_e64 v23, null, s23, v23, vcc_lo
	global_load_b32 v2, v[22:23], off
	s_wait_loadcnt 0x0
	v_mul_f32_e32 v2, s2, v2
	ds_store_b32 v13, v2
.LBB7_27:                               ;   in Loop: Header=BB7_14 Depth=2
	s_or_b32 exec_lo, exec_lo, s19
	s_and_saveexec_b32 s19, s33
	s_cbranch_execz .LBB7_31
; %bb.28:                               ;   in Loop: Header=BB7_14 Depth=2
	s_and_not1_b32 vcc_lo, exec_lo, s13
	s_wait_alu 0xfffe
	s_cbranch_vccnz .LBB7_40
; %bb.29:                               ;   in Loop: Header=BB7_14 Depth=2
	v_add_nc_u32_e32 v2, s25, v6
	s_delay_alu instid0(VALU_DEP_1) | instskip(NEXT) | instid1(VALU_DEP_1)
	v_lshlrev_b64_e32 v[22:23], 2, v[2:3]
	v_add_co_u32 v22, vcc_lo, s22, v22
	s_wait_alu 0xfffd
	s_delay_alu instid0(VALU_DEP_2)
	v_add_co_ci_u32_e64 v23, null, s23, v23, vcc_lo
	global_load_b32 v2, v[22:23], off
	s_wait_loadcnt 0x0
	v_mul_f32_e32 v2, s2, v2
	ds_store_b32 v19, v2
	s_cbranch_execnz .LBB7_31
.LBB7_30:                               ;   in Loop: Header=BB7_14 Depth=2
	v_add3_u32 v2, v8, s25, 16
	s_delay_alu instid0(VALU_DEP_1) | instskip(NEXT) | instid1(VALU_DEP_1)
	v_lshlrev_b64_e32 v[22:23], 2, v[2:3]
	v_add_co_u32 v22, vcc_lo, s22, v22
	s_wait_alu 0xfffd
	s_delay_alu instid0(VALU_DEP_2)
	v_add_co_ci_u32_e64 v23, null, s23, v23, vcc_lo
	global_load_b32 v2, v[22:23], off
	s_wait_loadcnt 0x0
	v_mul_f32_e32 v2, s2, v2
	ds_store_b32 v14, v2
.LBB7_31:                               ;   in Loop: Header=BB7_14 Depth=2
	s_or_b32 exec_lo, exec_lo, s19
	s_and_saveexec_b32 s19, s34
	s_cbranch_execz .LBB7_35
; %bb.32:                               ;   in Loop: Header=BB7_14 Depth=2
	s_and_not1_b32 vcc_lo, exec_lo, s13
	s_wait_alu 0xfffe
	s_cbranch_vccnz .LBB7_41
; %bb.33:                               ;   in Loop: Header=BB7_14 Depth=2
	v_add_nc_u32_e32 v2, s25, v7
	s_delay_alu instid0(VALU_DEP_1) | instskip(NEXT) | instid1(VALU_DEP_1)
	v_lshlrev_b64_e32 v[22:23], 2, v[2:3]
	v_add_co_u32 v22, vcc_lo, s22, v22
	s_wait_alu 0xfffd
	s_delay_alu instid0(VALU_DEP_2)
	v_add_co_ci_u32_e64 v23, null, s23, v23, vcc_lo
	global_load_b32 v2, v[22:23], off
	s_wait_loadcnt 0x0
	v_mul_f32_e32 v2, s2, v2
	ds_store_b32 v20, v2
	s_cbranch_execnz .LBB7_35
.LBB7_34:                               ;   in Loop: Header=BB7_14 Depth=2
	v_add3_u32 v2, v8, s25, 24
	s_delay_alu instid0(VALU_DEP_1) | instskip(NEXT) | instid1(VALU_DEP_1)
	v_lshlrev_b64_e32 v[22:23], 2, v[2:3]
	v_add_co_u32 v22, vcc_lo, s22, v22
	s_wait_alu 0xfffd
	s_delay_alu instid0(VALU_DEP_2)
	v_add_co_ci_u32_e64 v23, null, s23, v23, vcc_lo
	global_load_b32 v2, v[22:23], off
	s_wait_loadcnt 0x0
	v_mul_f32_e32 v2, s2, v2
	ds_store_b32 v15, v2
.LBB7_35:                               ;   in Loop: Header=BB7_14 Depth=2
	s_or_b32 exec_lo, exec_lo, s19
	s_mov_b32 s19, s36
	s_wait_alu 0xfffe
	s_and_not1_b32 vcc_lo, exec_lo, s37
	s_mov_b32 s36, -1
	s_wait_alu 0xfffe
	s_cbranch_vccz .LBB7_17
.LBB7_36:                               ;   in Loop: Header=BB7_14 Depth=2
                                        ; implicit-def: $sgpr25
                                        ; implicit-def: $sgpr0_sgpr1
	s_and_not1_b32 vcc_lo, exec_lo, s36
	s_wait_alu 0xfffe
	s_cbranch_vccz .LBB7_43
.LBB7_37:                               ;   in Loop: Header=BB7_14 Depth=2
	s_mov_b32 s36, s19
	s_branch .LBB7_14
.LBB7_38:                               ;   in Loop: Header=BB7_14 Depth=2
	s_branch .LBB7_22
.LBB7_39:                               ;   in Loop: Header=BB7_14 Depth=2
	s_branch .LBB7_26
.LBB7_40:                               ;   in Loop: Header=BB7_14 Depth=2
	s_branch .LBB7_30
.LBB7_41:                               ;   in Loop: Header=BB7_14 Depth=2
	s_branch .LBB7_34
.LBB7_42:                               ;   in Loop: Header=BB7_12 Depth=1
	s_mov_b32 s19, s14
.LBB7_43:                               ;   in Loop: Header=BB7_12 Depth=1
	s_cmp_ge_i32 s24, s7
	s_wait_loadcnt_dscnt 0x0
	s_barrier_signal -1
	s_barrier_wait -1
	global_inv scope:SCOPE_SE
	s_cbranch_scc1 .LBB7_73
; %bb.44:                               ;   in Loop: Header=BB7_12 Depth=1
	s_mul_i32 s0, s15, s24
	s_ashr_i32 s25, s24, 31
	s_wait_alu 0xfffe
	v_add_nc_u32_e32 v2, s0, v0
	v_add_nc_u32_e32 v6, s0, v10
	;; [unrolled: 1-line block ×4, first 2 shown]
	s_mov_b32 s36, 0
	v_mad_co_u64_u32 v[4:5], null, s15, v2, v[1:2]
	v_mad_co_u64_u32 v[5:6], null, s15, v6, v[1:2]
	v_add_nc_u32_e32 v2, s0, v17
	s_lshl_b64 s[0:1], s[24:25], 2
	s_wait_alu 0xfffe
	s_add_nc_u64 s[0:1], s[8:9], s[0:1]
	s_delay_alu instid0(VALU_DEP_1)
	v_mad_co_u64_u32 v[6:7], null, s15, v7, v[1:2]
	v_mad_co_u64_u32 v[7:8], null, s15, v2, v[1:2]
	;; [unrolled: 1-line block ×3, first 2 shown]
.LBB7_45:                               ;   Parent Loop BB7_12 Depth=1
                                        ; =>  This Inner Loop Header: Depth=2
	s_load_b32 s25, s[0:1], 0x0
	s_mov_b32 s38, -1
	s_wait_kmcnt 0x0
	s_sub_co_i32 s39, s25, s5
                                        ; implicit-def: $sgpr25
	s_delay_alu instid0(SALU_CYCLE_1)
	s_cmp_eq_u32 s39, s29
	s_cselect_b32 s37, -1, 0
	s_cmp_lg_u32 s39, s29
	s_cbranch_scc1 .LBB7_49
; %bb.46:                               ;   in Loop: Header=BB7_45 Depth=2
	s_and_not1_b32 vcc_lo, exec_lo, s38
	s_wait_alu 0xfffe
	s_cbranch_vccz .LBB7_50
.LBB7_47:                               ;   in Loop: Header=BB7_45 Depth=2
	s_wait_alu 0xfffe
	s_and_not1_b32 vcc_lo, exec_lo, s37
	s_mov_b32 s19, -1
	s_wait_alu 0xfffe
	s_cbranch_vccnz .LBB7_67
.LBB7_48:                               ;   in Loop: Header=BB7_45 Depth=2
	s_add_co_i32 s24, s24, 1
	s_add_co_i32 s36, s36, s35
	s_wait_alu 0xfffe
	s_cmp_ge_i32 s24, s7
	s_add_nc_u64 s[0:1], s[0:1], 4
	s_cselect_b32 s19, -1, 0
	s_delay_alu instid0(SALU_CYCLE_1)
	s_and_not1_b32 vcc_lo, exec_lo, s19
	s_wait_alu 0xfffe
	s_cbranch_vccnz .LBB7_68
	s_branch .LBB7_74
.LBB7_49:                               ;   in Loop: Header=BB7_45 Depth=2
	s_min_i32 s25, s39, s19
	s_cbranch_execnz .LBB7_47
.LBB7_50:                               ;   in Loop: Header=BB7_45 Depth=2
	ds_store_b32 v3, v21 offset:4096
	s_and_saveexec_b32 s25, s30
	s_cbranch_execz .LBB7_54
; %bb.51:                               ;   in Loop: Header=BB7_45 Depth=2
	s_and_b32 vcc_lo, exec_lo, s13
	s_wait_alu 0xfffe
	s_cbranch_vccz .LBB7_69
; %bb.52:                               ;   in Loop: Header=BB7_45 Depth=2
	v_add_nc_u32_e32 v2, s36, v4
	ds_load_b32 v9, v16
	v_lshlrev_b64_e32 v[22:23], 2, v[2:3]
	s_delay_alu instid0(VALU_DEP_1) | instskip(SKIP_1) | instid1(VALU_DEP_2)
	v_add_co_u32 v22, vcc_lo, s10, v22
	s_wait_alu 0xfffd
	v_add_co_ci_u32_e64 v23, null, s11, v23, vcc_lo
	global_load_b32 v2, v[22:23], off
	s_wait_loadcnt_dscnt 0x0
	v_fmac_f32_e32 v9, s12, v2
	ds_store_b32 v16, v9
	s_cbranch_execnz .LBB7_54
.LBB7_53:                               ;   in Loop: Header=BB7_45 Depth=2
	v_add_nc_u32_e32 v2, s36, v8
	ds_load_b32 v9, v11
	v_lshlrev_b64_e32 v[22:23], 2, v[2:3]
	s_delay_alu instid0(VALU_DEP_1) | instskip(SKIP_1) | instid1(VALU_DEP_2)
	v_add_co_u32 v22, vcc_lo, s10, v22
	s_wait_alu 0xfffd
	v_add_co_ci_u32_e64 v23, null, s11, v23, vcc_lo
	global_load_b32 v2, v[22:23], off
	s_wait_loadcnt_dscnt 0x0
	v_fmac_f32_e32 v9, s12, v2
	ds_store_b32 v11, v9
.LBB7_54:                               ;   in Loop: Header=BB7_45 Depth=2
	s_wait_alu 0xfffe
	s_or_b32 exec_lo, exec_lo, s25
	s_and_saveexec_b32 s25, s31
	s_cbranch_execz .LBB7_58
; %bb.55:                               ;   in Loop: Header=BB7_45 Depth=2
	s_and_not1_b32 vcc_lo, exec_lo, s13
	s_wait_alu 0xfffe
	s_cbranch_vccnz .LBB7_70
; %bb.56:                               ;   in Loop: Header=BB7_45 Depth=2
	v_add_nc_u32_e32 v2, s36, v5
	ds_load_b32 v9, v18
	v_lshlrev_b64_e32 v[22:23], 2, v[2:3]
	s_delay_alu instid0(VALU_DEP_1) | instskip(SKIP_1) | instid1(VALU_DEP_2)
	v_add_co_u32 v22, vcc_lo, s10, v22
	s_wait_alu 0xfffd
	v_add_co_ci_u32_e64 v23, null, s11, v23, vcc_lo
	global_load_b32 v2, v[22:23], off
	s_wait_loadcnt_dscnt 0x0
	v_fmac_f32_e32 v9, s12, v2
	ds_store_b32 v18, v9
	s_cbranch_execnz .LBB7_58
.LBB7_57:                               ;   in Loop: Header=BB7_45 Depth=2
	v_add3_u32 v2, v8, s36, 8
	ds_load_b32 v9, v13
	v_lshlrev_b64_e32 v[22:23], 2, v[2:3]
	s_delay_alu instid0(VALU_DEP_1) | instskip(SKIP_1) | instid1(VALU_DEP_2)
	v_add_co_u32 v22, vcc_lo, s10, v22
	s_wait_alu 0xfffd
	v_add_co_ci_u32_e64 v23, null, s11, v23, vcc_lo
	global_load_b32 v2, v[22:23], off
	s_wait_loadcnt_dscnt 0x0
	v_fmac_f32_e32 v9, s12, v2
	ds_store_b32 v13, v9
.LBB7_58:                               ;   in Loop: Header=BB7_45 Depth=2
	s_wait_alu 0xfffe
	s_or_b32 exec_lo, exec_lo, s25
	s_and_saveexec_b32 s25, s33
	s_cbranch_execz .LBB7_62
; %bb.59:                               ;   in Loop: Header=BB7_45 Depth=2
	s_and_not1_b32 vcc_lo, exec_lo, s13
	s_wait_alu 0xfffe
	s_cbranch_vccnz .LBB7_71
; %bb.60:                               ;   in Loop: Header=BB7_45 Depth=2
	v_add_nc_u32_e32 v2, s36, v6
	ds_load_b32 v9, v19
	v_lshlrev_b64_e32 v[22:23], 2, v[2:3]
	s_delay_alu instid0(VALU_DEP_1) | instskip(SKIP_1) | instid1(VALU_DEP_2)
	v_add_co_u32 v22, vcc_lo, s10, v22
	s_wait_alu 0xfffd
	v_add_co_ci_u32_e64 v23, null, s11, v23, vcc_lo
	global_load_b32 v2, v[22:23], off
	s_wait_loadcnt_dscnt 0x0
	v_fmac_f32_e32 v9, s12, v2
	ds_store_b32 v19, v9
	s_cbranch_execnz .LBB7_62
.LBB7_61:                               ;   in Loop: Header=BB7_45 Depth=2
	v_add3_u32 v2, v8, s36, 16
	ds_load_b32 v9, v14
	v_lshlrev_b64_e32 v[22:23], 2, v[2:3]
	s_delay_alu instid0(VALU_DEP_1) | instskip(SKIP_1) | instid1(VALU_DEP_2)
	v_add_co_u32 v22, vcc_lo, s10, v22
	s_wait_alu 0xfffd
	v_add_co_ci_u32_e64 v23, null, s11, v23, vcc_lo
	global_load_b32 v2, v[22:23], off
	s_wait_loadcnt_dscnt 0x0
	v_fmac_f32_e32 v9, s12, v2
	ds_store_b32 v14, v9
.LBB7_62:                               ;   in Loop: Header=BB7_45 Depth=2
	s_wait_alu 0xfffe
	s_or_b32 exec_lo, exec_lo, s25
	s_and_saveexec_b32 s25, s34
	s_cbranch_execz .LBB7_66
; %bb.63:                               ;   in Loop: Header=BB7_45 Depth=2
	s_and_not1_b32 vcc_lo, exec_lo, s13
	s_wait_alu 0xfffe
	s_cbranch_vccnz .LBB7_72
; %bb.64:                               ;   in Loop: Header=BB7_45 Depth=2
	v_add_nc_u32_e32 v2, s36, v7
	ds_load_b32 v9, v20
	v_lshlrev_b64_e32 v[22:23], 2, v[2:3]
	s_delay_alu instid0(VALU_DEP_1) | instskip(SKIP_1) | instid1(VALU_DEP_2)
	v_add_co_u32 v22, vcc_lo, s10, v22
	s_wait_alu 0xfffd
	v_add_co_ci_u32_e64 v23, null, s11, v23, vcc_lo
	global_load_b32 v2, v[22:23], off
	s_wait_loadcnt_dscnt 0x0
	v_fmac_f32_e32 v9, s12, v2
	ds_store_b32 v20, v9
	s_cbranch_execnz .LBB7_66
.LBB7_65:                               ;   in Loop: Header=BB7_45 Depth=2
	v_add3_u32 v2, v8, s36, 24
	ds_load_b32 v9, v15
	v_lshlrev_b64_e32 v[22:23], 2, v[2:3]
	s_delay_alu instid0(VALU_DEP_1) | instskip(SKIP_1) | instid1(VALU_DEP_2)
	v_add_co_u32 v22, vcc_lo, s10, v22
	s_wait_alu 0xfffd
	v_add_co_ci_u32_e64 v23, null, s11, v23, vcc_lo
	global_load_b32 v2, v[22:23], off
	s_wait_loadcnt_dscnt 0x0
	v_fmac_f32_e32 v9, s12, v2
	ds_store_b32 v15, v9
.LBB7_66:                               ;   in Loop: Header=BB7_45 Depth=2
	s_wait_alu 0xfffe
	s_or_b32 exec_lo, exec_lo, s25
	s_mov_b32 s25, s19
	s_and_not1_b32 vcc_lo, exec_lo, s37
	s_mov_b32 s19, -1
	s_wait_alu 0xfffe
	s_cbranch_vccz .LBB7_48
.LBB7_67:                               ;   in Loop: Header=BB7_45 Depth=2
                                        ; implicit-def: $sgpr36
                                        ; implicit-def: $sgpr0_sgpr1
	s_and_not1_b32 vcc_lo, exec_lo, s19
	s_wait_alu 0xfffe
	s_cbranch_vccz .LBB7_74
.LBB7_68:                               ;   in Loop: Header=BB7_45 Depth=2
	s_mov_b32 s19, s25
	s_branch .LBB7_45
.LBB7_69:                               ;   in Loop: Header=BB7_45 Depth=2
	s_branch .LBB7_53
.LBB7_70:                               ;   in Loop: Header=BB7_45 Depth=2
	s_branch .LBB7_57
.LBB7_71:                               ;   in Loop: Header=BB7_45 Depth=2
	s_branch .LBB7_61
.LBB7_72:                               ;   in Loop: Header=BB7_45 Depth=2
	s_branch .LBB7_65
.LBB7_73:                               ;   in Loop: Header=BB7_12 Depth=1
	s_mov_b32 s25, s19
.LBB7_74:                               ;   in Loop: Header=BB7_12 Depth=1
	s_wait_loadcnt_dscnt 0x0
	s_barrier_signal -1
	s_barrier_wait -1
	global_inv scope:SCOPE_SE
	ds_load_b32 v2, v3 offset:4096
	s_wait_dscnt 0x0
	v_cmp_eq_u32_e32 vcc_lo, 0, v2
	s_cbranch_vccnz .LBB7_11
; %bb.75:                               ;   in Loop: Header=BB7_12 Depth=1
	s_mul_i32 s0, s28, s15
	s_add_co_i32 s1, s29, s6
	s_wait_alu 0xfffe
	v_add_nc_u32_e32 v2, s0, v1
	s_ashr_i32 s29, s28, 31
	s_delay_alu instid0(SALU_CYCLE_1)
	s_lshl_b64 s[36:37], s[28:29], 2
	s_wait_alu 0xfffe
	s_add_nc_u64 s[36:37], s[26:27], s[36:37]
	v_mul_lo_u32 v4, v2, s15
	v_mov_b32_e32 v2, s1
	global_store_b32 v3, v2, s[36:37]
	s_and_saveexec_b32 s1, s30
	s_cbranch_execnz .LBB7_79
; %bb.76:                               ;   in Loop: Header=BB7_12 Depth=1
	s_wait_alu 0xfffe
	s_or_b32 exec_lo, exec_lo, s1
	s_and_saveexec_b32 s1, s31
	s_cbranch_execnz .LBB7_83
.LBB7_77:                               ;   in Loop: Header=BB7_12 Depth=1
	s_wait_alu 0xfffe
	s_or_b32 exec_lo, exec_lo, s1
	s_and_saveexec_b32 s1, s33
	s_cbranch_execnz .LBB7_87
.LBB7_78:                               ;   in Loop: Header=BB7_12 Depth=1
	s_wait_alu 0xfffe
	s_or_b32 exec_lo, exec_lo, s1
	s_and_saveexec_b32 s1, s34
	s_cbranch_execz .LBB7_10
	s_branch .LBB7_91
.LBB7_79:                               ;   in Loop: Header=BB7_12 Depth=1
	s_and_b32 vcc_lo, exec_lo, s13
	s_wait_alu 0xfffe
	s_cbranch_vccz .LBB7_93
; %bb.80:                               ;   in Loop: Header=BB7_12 Depth=1
	v_add_nc_u32_e32 v2, s0, v0
	s_delay_alu instid0(VALU_DEP_1) | instskip(NEXT) | instid1(VALU_DEP_1)
	v_mad_co_u64_u32 v[5:6], null, v2, s15, v[1:2]
	v_dual_mov_b32 v2, v5 :: v_dual_mov_b32 v5, v16
	s_cbranch_execnz .LBB7_82
.LBB7_81:                               ;   in Loop: Header=BB7_12 Depth=1
	v_dual_mov_b32 v5, v11 :: v_dual_add_nc_u32 v2, v4, v0
.LBB7_82:                               ;   in Loop: Header=BB7_12 Depth=1
	ds_load_b32 v7, v5
	v_lshlrev_b64_e32 v[5:6], 2, v[2:3]
	s_delay_alu instid0(VALU_DEP_1) | instskip(SKIP_1) | instid1(VALU_DEP_2)
	v_add_co_u32 v5, vcc_lo, s20, v5
	s_wait_alu 0xfffd
	v_add_co_ci_u32_e64 v6, null, s21, v6, vcc_lo
	s_wait_dscnt 0x0
	global_store_b32 v[5:6], v7, off
	s_or_b32 exec_lo, exec_lo, s1
	s_and_saveexec_b32 s1, s31
	s_cbranch_execz .LBB7_77
.LBB7_83:                               ;   in Loop: Header=BB7_12 Depth=1
	s_and_not1_b32 vcc_lo, exec_lo, s13
	s_wait_alu 0xfffe
	s_cbranch_vccnz .LBB7_94
; %bb.84:                               ;   in Loop: Header=BB7_12 Depth=1
	v_add_nc_u32_e32 v2, s0, v10
	s_delay_alu instid0(VALU_DEP_1) | instskip(NEXT) | instid1(VALU_DEP_1)
	v_mad_co_u64_u32 v[5:6], null, v2, s15, v[1:2]
	v_dual_mov_b32 v2, v5 :: v_dual_mov_b32 v5, v18
	s_cbranch_execnz .LBB7_86
.LBB7_85:                               ;   in Loop: Header=BB7_12 Depth=1
	v_dual_mov_b32 v5, v13 :: v_dual_add_nc_u32 v2, v4, v10
.LBB7_86:                               ;   in Loop: Header=BB7_12 Depth=1
	ds_load_b32 v7, v5
	v_lshlrev_b64_e32 v[5:6], 2, v[2:3]
	s_delay_alu instid0(VALU_DEP_1) | instskip(SKIP_1) | instid1(VALU_DEP_2)
	v_add_co_u32 v5, vcc_lo, s20, v5
	s_wait_alu 0xfffd
	v_add_co_ci_u32_e64 v6, null, s21, v6, vcc_lo
	s_wait_dscnt 0x0
	global_store_b32 v[5:6], v7, off
	s_or_b32 exec_lo, exec_lo, s1
	s_and_saveexec_b32 s1, s33
	s_cbranch_execz .LBB7_78
.LBB7_87:                               ;   in Loop: Header=BB7_12 Depth=1
	s_and_not1_b32 vcc_lo, exec_lo, s13
	s_wait_alu 0xfffe
	s_cbranch_vccnz .LBB7_95
; %bb.88:                               ;   in Loop: Header=BB7_12 Depth=1
	v_add_nc_u32_e32 v2, s0, v12
	s_delay_alu instid0(VALU_DEP_1) | instskip(NEXT) | instid1(VALU_DEP_1)
	v_mad_co_u64_u32 v[5:6], null, v2, s15, v[1:2]
	v_dual_mov_b32 v2, v5 :: v_dual_mov_b32 v5, v19
	s_cbranch_execnz .LBB7_90
.LBB7_89:                               ;   in Loop: Header=BB7_12 Depth=1
	v_dual_mov_b32 v5, v14 :: v_dual_add_nc_u32 v2, v4, v12
.LBB7_90:                               ;   in Loop: Header=BB7_12 Depth=1
	ds_load_b32 v7, v5
	v_lshlrev_b64_e32 v[5:6], 2, v[2:3]
	s_delay_alu instid0(VALU_DEP_1) | instskip(SKIP_1) | instid1(VALU_DEP_2)
	v_add_co_u32 v5, vcc_lo, s20, v5
	s_wait_alu 0xfffd
	v_add_co_ci_u32_e64 v6, null, s21, v6, vcc_lo
	s_wait_dscnt 0x0
	global_store_b32 v[5:6], v7, off
	s_or_b32 exec_lo, exec_lo, s1
	s_and_saveexec_b32 s1, s34
	s_cbranch_execz .LBB7_10
.LBB7_91:                               ;   in Loop: Header=BB7_12 Depth=1
	s_and_not1_b32 vcc_lo, exec_lo, s13
	s_wait_alu 0xfffe
	s_cbranch_vccnz .LBB7_96
; %bb.92:                               ;   in Loop: Header=BB7_12 Depth=1
	v_add_nc_u32_e32 v2, s0, v17
	s_delay_alu instid0(VALU_DEP_1) | instskip(NEXT) | instid1(VALU_DEP_1)
	v_mad_co_u64_u32 v[5:6], null, v2, s15, v[1:2]
	v_dual_mov_b32 v2, v5 :: v_dual_mov_b32 v5, v20
	s_cbranch_execnz .LBB7_9
	s_branch .LBB7_97
.LBB7_93:                               ;   in Loop: Header=BB7_12 Depth=1
	v_mov_b32_e32 v5, v16
	s_branch .LBB7_81
.LBB7_94:                               ;   in Loop: Header=BB7_12 Depth=1
	v_mov_b32_e32 v5, v18
	s_branch .LBB7_85
.LBB7_95:                               ;   in Loop: Header=BB7_12 Depth=1
	v_mov_b32_e32 v5, v19
	s_branch .LBB7_89
.LBB7_96:                               ;   in Loop: Header=BB7_12 Depth=1
	v_mov_b32_e32 v5, v20
.LBB7_97:                               ;   in Loop: Header=BB7_12 Depth=1
	v_dual_mov_b32 v5, v15 :: v_dual_add_nc_u32 v2, v4, v17
	s_branch .LBB7_9
.LBB7_98:
	s_endpgm
	.section	.rodata,"a",@progbits
	.p2align	6, 0x0
	.amdhsa_kernel _ZN9rocsparseL39bsrgeam_block_per_row_multipass_kernel2ILj256ELj32EfEEv20rocsparse_direction_iiiNS_24const_host_device_scalarIT1_EEPKiS6_PKS3_S4_S6_S6_S8_S6_PiPS3_21rocsparse_index_base_SB_SB_b
		.amdhsa_group_segment_fixed_size 4100
		.amdhsa_private_segment_fixed_size 0
		.amdhsa_kernarg_size 120
		.amdhsa_user_sgpr_count 2
		.amdhsa_user_sgpr_dispatch_ptr 0
		.amdhsa_user_sgpr_queue_ptr 0
		.amdhsa_user_sgpr_kernarg_segment_ptr 1
		.amdhsa_user_sgpr_dispatch_id 0
		.amdhsa_user_sgpr_private_segment_size 0
		.amdhsa_wavefront_size32 1
		.amdhsa_uses_dynamic_stack 0
		.amdhsa_enable_private_segment 0
		.amdhsa_system_sgpr_workgroup_id_x 1
		.amdhsa_system_sgpr_workgroup_id_y 0
		.amdhsa_system_sgpr_workgroup_id_z 0
		.amdhsa_system_sgpr_workgroup_info 0
		.amdhsa_system_vgpr_workitem_id 0
		.amdhsa_next_free_vgpr 24
		.amdhsa_next_free_sgpr 40
		.amdhsa_reserve_vcc 1
		.amdhsa_float_round_mode_32 0
		.amdhsa_float_round_mode_16_64 0
		.amdhsa_float_denorm_mode_32 3
		.amdhsa_float_denorm_mode_16_64 3
		.amdhsa_fp16_overflow 0
		.amdhsa_workgroup_processor_mode 1
		.amdhsa_memory_ordered 1
		.amdhsa_forward_progress 1
		.amdhsa_inst_pref_size 26
		.amdhsa_round_robin_scheduling 0
		.amdhsa_exception_fp_ieee_invalid_op 0
		.amdhsa_exception_fp_denorm_src 0
		.amdhsa_exception_fp_ieee_div_zero 0
		.amdhsa_exception_fp_ieee_overflow 0
		.amdhsa_exception_fp_ieee_underflow 0
		.amdhsa_exception_fp_ieee_inexact 0
		.amdhsa_exception_int_div_zero 0
	.end_amdhsa_kernel
	.section	.text._ZN9rocsparseL39bsrgeam_block_per_row_multipass_kernel2ILj256ELj32EfEEv20rocsparse_direction_iiiNS_24const_host_device_scalarIT1_EEPKiS6_PKS3_S4_S6_S6_S8_S6_PiPS3_21rocsparse_index_base_SB_SB_b,"axG",@progbits,_ZN9rocsparseL39bsrgeam_block_per_row_multipass_kernel2ILj256ELj32EfEEv20rocsparse_direction_iiiNS_24const_host_device_scalarIT1_EEPKiS6_PKS3_S4_S6_S6_S8_S6_PiPS3_21rocsparse_index_base_SB_SB_b,comdat
.Lfunc_end7:
	.size	_ZN9rocsparseL39bsrgeam_block_per_row_multipass_kernel2ILj256ELj32EfEEv20rocsparse_direction_iiiNS_24const_host_device_scalarIT1_EEPKiS6_PKS3_S4_S6_S6_S8_S6_PiPS3_21rocsparse_index_base_SB_SB_b, .Lfunc_end7-_ZN9rocsparseL39bsrgeam_block_per_row_multipass_kernel2ILj256ELj32EfEEv20rocsparse_direction_iiiNS_24const_host_device_scalarIT1_EEPKiS6_PKS3_S4_S6_S6_S8_S6_PiPS3_21rocsparse_index_base_SB_SB_b
                                        ; -- End function
	.set _ZN9rocsparseL39bsrgeam_block_per_row_multipass_kernel2ILj256ELj32EfEEv20rocsparse_direction_iiiNS_24const_host_device_scalarIT1_EEPKiS6_PKS3_S4_S6_S6_S8_S6_PiPS3_21rocsparse_index_base_SB_SB_b.num_vgpr, 24
	.set _ZN9rocsparseL39bsrgeam_block_per_row_multipass_kernel2ILj256ELj32EfEEv20rocsparse_direction_iiiNS_24const_host_device_scalarIT1_EEPKiS6_PKS3_S4_S6_S6_S8_S6_PiPS3_21rocsparse_index_base_SB_SB_b.num_agpr, 0
	.set _ZN9rocsparseL39bsrgeam_block_per_row_multipass_kernel2ILj256ELj32EfEEv20rocsparse_direction_iiiNS_24const_host_device_scalarIT1_EEPKiS6_PKS3_S4_S6_S6_S8_S6_PiPS3_21rocsparse_index_base_SB_SB_b.numbered_sgpr, 40
	.set _ZN9rocsparseL39bsrgeam_block_per_row_multipass_kernel2ILj256ELj32EfEEv20rocsparse_direction_iiiNS_24const_host_device_scalarIT1_EEPKiS6_PKS3_S4_S6_S6_S8_S6_PiPS3_21rocsparse_index_base_SB_SB_b.num_named_barrier, 0
	.set _ZN9rocsparseL39bsrgeam_block_per_row_multipass_kernel2ILj256ELj32EfEEv20rocsparse_direction_iiiNS_24const_host_device_scalarIT1_EEPKiS6_PKS3_S4_S6_S6_S8_S6_PiPS3_21rocsparse_index_base_SB_SB_b.private_seg_size, 0
	.set _ZN9rocsparseL39bsrgeam_block_per_row_multipass_kernel2ILj256ELj32EfEEv20rocsparse_direction_iiiNS_24const_host_device_scalarIT1_EEPKiS6_PKS3_S4_S6_S6_S8_S6_PiPS3_21rocsparse_index_base_SB_SB_b.uses_vcc, 1
	.set _ZN9rocsparseL39bsrgeam_block_per_row_multipass_kernel2ILj256ELj32EfEEv20rocsparse_direction_iiiNS_24const_host_device_scalarIT1_EEPKiS6_PKS3_S4_S6_S6_S8_S6_PiPS3_21rocsparse_index_base_SB_SB_b.uses_flat_scratch, 0
	.set _ZN9rocsparseL39bsrgeam_block_per_row_multipass_kernel2ILj256ELj32EfEEv20rocsparse_direction_iiiNS_24const_host_device_scalarIT1_EEPKiS6_PKS3_S4_S6_S6_S8_S6_PiPS3_21rocsparse_index_base_SB_SB_b.has_dyn_sized_stack, 0
	.set _ZN9rocsparseL39bsrgeam_block_per_row_multipass_kernel2ILj256ELj32EfEEv20rocsparse_direction_iiiNS_24const_host_device_scalarIT1_EEPKiS6_PKS3_S4_S6_S6_S8_S6_PiPS3_21rocsparse_index_base_SB_SB_b.has_recursion, 0
	.set _ZN9rocsparseL39bsrgeam_block_per_row_multipass_kernel2ILj256ELj32EfEEv20rocsparse_direction_iiiNS_24const_host_device_scalarIT1_EEPKiS6_PKS3_S4_S6_S6_S8_S6_PiPS3_21rocsparse_index_base_SB_SB_b.has_indirect_call, 0
	.section	.AMDGPU.csdata,"",@progbits
; Kernel info:
; codeLenInByte = 3240
; TotalNumSgprs: 42
; NumVgprs: 24
; ScratchSize: 0
; MemoryBound: 0
; FloatMode: 240
; IeeeMode: 1
; LDSByteSize: 4100 bytes/workgroup (compile time only)
; SGPRBlocks: 0
; VGPRBlocks: 2
; NumSGPRsForWavesPerEU: 42
; NumVGPRsForWavesPerEU: 24
; Occupancy: 16
; WaveLimiterHint : 1
; COMPUTE_PGM_RSRC2:SCRATCH_EN: 0
; COMPUTE_PGM_RSRC2:USER_SGPR: 2
; COMPUTE_PGM_RSRC2:TRAP_HANDLER: 0
; COMPUTE_PGM_RSRC2:TGID_X_EN: 1
; COMPUTE_PGM_RSRC2:TGID_Y_EN: 0
; COMPUTE_PGM_RSRC2:TGID_Z_EN: 0
; COMPUTE_PGM_RSRC2:TIDIG_COMP_CNT: 0
	.section	.text._ZN9rocsparseL39bsrgeam_wf_per_row_multipass_2_3_kernelILj256ELj2ELj32EdEEv20rocsparse_direction_iiiNS_24const_host_device_scalarIT2_EEPKiS6_PKS3_S4_S6_S6_S8_S6_PiPS3_21rocsparse_index_base_SB_SB_b,"axG",@progbits,_ZN9rocsparseL39bsrgeam_wf_per_row_multipass_2_3_kernelILj256ELj2ELj32EdEEv20rocsparse_direction_iiiNS_24const_host_device_scalarIT2_EEPKiS6_PKS3_S4_S6_S6_S8_S6_PiPS3_21rocsparse_index_base_SB_SB_b,comdat
	.globl	_ZN9rocsparseL39bsrgeam_wf_per_row_multipass_2_3_kernelILj256ELj2ELj32EdEEv20rocsparse_direction_iiiNS_24const_host_device_scalarIT2_EEPKiS6_PKS3_S4_S6_S6_S8_S6_PiPS3_21rocsparse_index_base_SB_SB_b ; -- Begin function _ZN9rocsparseL39bsrgeam_wf_per_row_multipass_2_3_kernelILj256ELj2ELj32EdEEv20rocsparse_direction_iiiNS_24const_host_device_scalarIT2_EEPKiS6_PKS3_S4_S6_S6_S8_S6_PiPS3_21rocsparse_index_base_SB_SB_b
	.p2align	8
	.type	_ZN9rocsparseL39bsrgeam_wf_per_row_multipass_2_3_kernelILj256ELj2ELj32EdEEv20rocsparse_direction_iiiNS_24const_host_device_scalarIT2_EEPKiS6_PKS3_S4_S6_S6_S8_S6_PiPS3_21rocsparse_index_base_SB_SB_b,@function
_ZN9rocsparseL39bsrgeam_wf_per_row_multipass_2_3_kernelILj256ELj2ELj32EdEEv20rocsparse_direction_iiiNS_24const_host_device_scalarIT2_EEPKiS6_PKS3_S4_S6_S6_S8_S6_PiPS3_21rocsparse_index_base_SB_SB_b: ; @_ZN9rocsparseL39bsrgeam_wf_per_row_multipass_2_3_kernelILj256ELj2ELj32EdEEv20rocsparse_direction_iiiNS_24const_host_device_scalarIT2_EEPKiS6_PKS3_S4_S6_S6_S8_S6_PiPS3_21rocsparse_index_base_SB_SB_b
; %bb.0:
	s_clause 0x2
	s_load_b128 s[4:7], s[0:1], 0x68
	s_load_b64 s[8:9], s[0:1], 0x10
	s_load_b64 s[2:3], s[0:1], 0x30
	s_wait_kmcnt 0x0
	s_bitcmp1_b32 s7, 0
	v_dual_mov_b32 v8, s8 :: v_dual_mov_b32 v9, s9
	s_cselect_b32 s7, -1, 0
	s_delay_alu instid0(SALU_CYCLE_1)
	s_and_b32 vcc_lo, exec_lo, s7
	s_xor_b32 s7, s7, -1
	s_cbranch_vccnz .LBB8_2
; %bb.1:
	v_dual_mov_b32 v1, s8 :: v_dual_mov_b32 v2, s9
	flat_load_b64 v[8:9], v[1:2]
.LBB8_2:
	v_dual_mov_b32 v11, s3 :: v_dual_mov_b32 v10, s2
	s_and_not1_b32 vcc_lo, exec_lo, s7
	s_cbranch_vccnz .LBB8_4
; %bb.3:
	v_dual_mov_b32 v1, s2 :: v_dual_mov_b32 v2, s3
	flat_load_b64 v[10:11], v[1:2]
.LBB8_4:
	s_load_b96 s[24:26], s[0:1], 0x0
	v_lshrrev_b32_e32 v7, 5, v0
	s_lshl_b32 s2, ttmp9, 3
	s_wait_alu 0xfffe
	s_delay_alu instid0(VALU_DEP_1) | instskip(SKIP_2) | instid1(VALU_DEP_1)
	v_and_or_b32 v1, 0x7fffff8, s2, v7
	s_mov_b32 s2, exec_lo
	s_wait_kmcnt 0x0
	v_cmpx_gt_i32_e64 s25, v1
	s_cbranch_execz .LBB8_39
; %bb.5:
	s_clause 0x2
	s_load_b128 s[8:11], s[0:1], 0x18
	s_load_b128 s[12:15], s[0:1], 0x38
	s_load_b64 s[2:3], s[0:1], 0x50
	v_lshlrev_b32_e32 v3, 2, v1
	s_wait_kmcnt 0x0
	s_clause 0x2
	global_load_b64 v[1:2], v3, s[8:9]
	global_load_b64 v[5:6], v3, s[12:13]
	global_load_b32 v12, v3, s[2:3]
	s_wait_loadcnt 0x2
	v_subrev_nc_u32_e32 v3, s4, v1
	v_cmp_lt_i32_e32 vcc_lo, v1, v2
	v_mov_b32_e32 v1, s26
	s_and_saveexec_b32 s2, vcc_lo
	s_cbranch_execz .LBB8_7
; %bb.6:
	v_ashrrev_i32_e32 v4, 31, v3
	s_delay_alu instid0(VALU_DEP_1) | instskip(NEXT) | instid1(VALU_DEP_1)
	v_lshlrev_b64_e32 v[13:14], 2, v[3:4]
	v_add_co_u32 v13, vcc_lo, s10, v13
	s_delay_alu instid0(VALU_DEP_1)
	v_add_co_ci_u32_e64 v14, null, s11, v14, vcc_lo
	global_load_b32 v1, v[13:14], off
	s_wait_loadcnt 0x0
	v_subrev_nc_u32_e32 v1, s4, v1
.LBB8_7:
	s_wait_alu 0xfffe
	s_or_b32 exec_lo, exec_lo, s2
	s_clause 0x2
	s_load_b128 s[16:19], s[0:1], 0x58
	s_load_b64 s[2:3], s[0:1], 0x28
	s_load_b64 s[8:9], s[0:1], 0x48
	s_wait_loadcnt 0x1
	v_subrev_nc_u32_e32 v4, s5, v5
	v_cmp_lt_i32_e32 vcc_lo, v5, v6
	v_mov_b32_e32 v5, s26
	s_and_saveexec_b32 s0, vcc_lo
	s_cbranch_execz .LBB8_9
; %bb.8:
	v_ashrrev_i32_e32 v5, 31, v4
	s_delay_alu instid0(VALU_DEP_1) | instskip(NEXT) | instid1(VALU_DEP_1)
	v_lshlrev_b64_e32 v[13:14], 2, v[4:5]
	v_add_co_u32 v13, vcc_lo, s14, v13
	s_wait_alu 0xfffd
	s_delay_alu instid0(VALU_DEP_2)
	v_add_co_ci_u32_e64 v14, null, s15, v14, vcc_lo
	global_load_b32 v5, v[13:14], off
	s_wait_loadcnt 0x0
	v_subrev_nc_u32_e32 v5, s5, v5
.LBB8_9:
	s_or_b32 exec_lo, exec_lo, s0
	s_movk_i32 s0, 0xe0
	s_delay_alu instid0(VALU_DEP_1)
	v_min_i32_e32 v28, v5, v1
	v_and_or_b32 v21, v0, s0, 0x2000
	v_mbcnt_lo_u32_b32 v1, -1, 0
	v_and_b32_e32 v0, 31, v0
	v_subrev_nc_u32_e32 v23, s5, v6
	s_wait_loadcnt 0x0
	v_subrev_nc_u32_e32 v24, s6, v12
	v_subrev_nc_u32_e32 v22, s4, v2
	v_xor_b32_e32 v6, 1, v1
	v_add_nc_u32_e32 v12, v3, v0
	v_xor_b32_e32 v3, 16, v1
	v_xor_b32_e32 v5, 2, v1
	s_cmp_lg_u32 s24, 0
	s_mov_b32 s20, 0
	s_cselect_b32 s1, -1, 0
	v_cmp_gt_i32_e32 vcc_lo, 32, v3
	s_cmp_eq_u32 s24, 0
	s_mov_b32 s21, s20
	s_cselect_b32 s0, 8, 16
	s_mov_b32 s22, s20
	s_wait_alu 0xfffd
	v_cndmask_b32_e32 v3, v1, v3, vcc_lo
	v_xor_b32_e32 v2, 31, v0
	v_dual_mov_b32 v17, 0 :: v_dual_add_nc_u32 v14, v4, v0
	v_xor_b32_e32 v4, 4, v1
	s_mov_b32 s23, s20
	s_delay_alu instid0(VALU_DEP_3) | instskip(SKIP_3) | instid1(VALU_DEP_3)
	v_lshrrev_b32_e64 v26, v2, -1
	v_xor_b32_e32 v2, 8, v1
	v_dual_mov_b32 v35, 1 :: v_dual_add_nc_u32 v34, v21, v0
	v_lshlrev_b32_e32 v29, 2, v3
	v_cmp_gt_i32_e32 vcc_lo, 32, v2
	v_add_nc_u32_e32 v27, s6, v0
	s_cselect_b32 s6, 16, 8
	s_wait_alu 0xfffd
	v_cndmask_b32_e32 v2, v1, v2, vcc_lo
	v_cmp_gt_i32_e32 vcc_lo, 32, v4
	s_delay_alu instid0(VALU_DEP_2) | instskip(SKIP_4) | instid1(VALU_DEP_3)
	v_lshlrev_b32_e32 v30, 2, v2
	s_wait_alu 0xfffd
	v_cndmask_b32_e32 v4, v1, v4, vcc_lo
	v_cmp_gt_i32_e32 vcc_lo, 32, v5
	v_lshlrev_b32_e32 v20, 10, v7
	v_lshlrev_b32_e32 v31, 2, v4
	s_wait_alu 0xfffd
	v_cndmask_b32_e32 v5, v1, v5, vcc_lo
	v_cmp_gt_i32_e32 vcc_lo, 32, v6
	v_lshl_or_b32 v25, v0, 5, v20
	s_wait_alu 0xfffd
	s_delay_alu instid0(VALU_DEP_3) | instskip(SKIP_1) | instid1(VALU_DEP_2)
	v_dual_cndmask_b32 v1, v1, v6 :: v_dual_lshlrev_b32 v32, 2, v5
	s_wait_alu 0xfffe
	v_add_nc_u32_e32 v36, s0, v25
	v_add_nc_u32_e32 v37, s6, v25
	s_delay_alu instid0(VALU_DEP_3)
	v_dual_mov_b32 v0, s20 :: v_dual_lshlrev_b32 v33, 2, v1
	v_dual_mov_b32 v1, s21 :: v_dual_mov_b32 v2, s22
	v_mov_b32_e32 v3, s23
	s_branch .LBB8_11
.LBB8_10:                               ;   in Loop: Header=BB8_11 Depth=1
	s_wait_alu 0xfffe
	s_or_b32 exec_lo, exec_lo, s6
	ds_bpermute_b32 v4, v29, v38
	s_bcnt1_i32_b32 s6, vcc_lo
	s_wait_alu 0xfffe
	v_add_nc_u32_e32 v24, s6, v24
	s_wait_dscnt 0x0
	v_min_i32_e32 v4, v4, v38
	ds_bpermute_b32 v5, v30, v4
	s_wait_dscnt 0x0
	v_min_i32_e32 v4, v5, v4
	ds_bpermute_b32 v5, v31, v4
	;; [unrolled: 3-line block ×4, first 2 shown]
	s_wait_dscnt 0x0
	v_min_i32_e32 v28, v5, v4
	s_delay_alu instid0(VALU_DEP_1)
	v_cmp_le_i32_e64 s0, s26, v28
	s_or_b32 s20, s0, s20
	s_wait_alu 0xfffe
	s_and_not1_b32 exec_lo, exec_lo, s20
	s_cbranch_execz .LBB8_39
.LBB8_11:                               ; =>This Loop Header: Depth=1
                                        ;     Child Loop BB8_14 Depth 2
                                        ;     Child Loop BB8_27 Depth 2
	v_mov_b32_e32 v38, s26
	s_mov_b32 s6, exec_lo
	ds_store_b8 v34, v17
	ds_store_b128 v25, v[0:3]
	ds_store_b128 v25, v[0:3] offset:16
	s_wait_dscnt 0x0
	global_inv scope:SCOPE_SE
	v_cmpx_lt_i32_e64 v12, v22
	s_cbranch_execz .LBB8_24
; %bb.12:                               ;   in Loop: Header=BB8_11 Depth=1
	v_lshlrev_b32_e32 v16, 2, v12
	v_mov_b32_e32 v38, s26
	s_mov_b32 s7, 0
	s_branch .LBB8_14
.LBB8_13:                               ;   in Loop: Header=BB8_14 Depth=2
	s_or_b32 exec_lo, exec_lo, s13
	s_delay_alu instid0(SALU_CYCLE_1)
	s_and_b32 s0, exec_lo, s12
	s_wait_alu 0xfffe
	s_or_b32 s7, s0, s7
	s_wait_alu 0xfffe
	s_and_not1_b32 exec_lo, exec_lo, s7
	s_cbranch_execz .LBB8_23
.LBB8_14:                               ;   Parent Loop BB8_11 Depth=1
                                        ; =>  This Inner Loop Header: Depth=2
	v_ashrrev_i32_e32 v13, 31, v12
	s_mov_b32 s12, exec_lo
	s_delay_alu instid0(VALU_DEP_1) | instskip(NEXT) | instid1(VALU_DEP_1)
	v_lshlrev_b64_e32 v[4:5], 2, v[12:13]
	v_add_co_u32 v4, vcc_lo, s10, v4
	s_wait_alu 0xfffd
	s_delay_alu instid0(VALU_DEP_2) | instskip(SKIP_3) | instid1(VALU_DEP_1)
	v_add_co_ci_u32_e64 v5, null, s11, v5, vcc_lo
	global_load_b32 v4, v[4:5], off
	s_wait_loadcnt 0x0
	v_subrev_nc_u32_e32 v4, s4, v4
	v_sub_nc_u32_e32 v6, v4, v28
	s_delay_alu instid0(VALU_DEP_1)
	v_cmp_gt_u32_e64 s0, 32, v6
	v_cmpx_lt_u32_e32 31, v6
	s_xor_b32 s12, exec_lo, s12
; %bb.15:                               ;   in Loop: Header=BB8_14 Depth=2
	v_min_i32_e32 v38, v4, v38
                                        ; implicit-def: $vgpr6
; %bb.16:                               ;   in Loop: Header=BB8_14 Depth=2
	s_and_not1_saveexec_b32 s12, s12
	s_cbranch_execz .LBB8_21
; %bb.17:                               ;   in Loop: Header=BB8_14 Depth=2
	v_lshlrev_b64_e32 v[4:5], 3, v[16:17]
	v_lshlrev_b32_e32 v7, 5, v6
	v_add_nc_u32_e32 v13, v21, v6
	s_mov_b32 s13, -1
	s_delay_alu instid0(VALU_DEP_2)
	v_add_nc_u32_e32 v6, v20, v7
	s_wait_kmcnt 0x0
	v_add_co_u32 v4, vcc_lo, s2, v4
	s_wait_alu 0xfffd
	v_add_co_ci_u32_e64 v5, null, s3, v5, vcc_lo
	s_and_not1_b32 vcc_lo, exec_lo, s1
	global_load_b64 v[18:19], v[4:5], off
	s_wait_loadcnt 0x0
	v_mul_f64_e32 v[18:19], v[8:9], v[18:19]
	ds_store_b8 v13, v35
	ds_store_b64 v6, v[18:19]
	s_wait_alu 0xfffe
	s_cbranch_vccnz .LBB8_19
; %bb.18:                               ;   in Loop: Header=BB8_14 Depth=2
	s_clause 0x1
	global_load_b128 v[39:42], v[4:5], off offset:8
	global_load_b64 v[18:19], v[4:5], off offset:24
	s_mov_b32 s13, 0
	s_wait_loadcnt 0x1
	v_mul_f64_e32 v[41:42], v[8:9], v[41:42]
	v_mul_f64_e32 v[39:40], v[8:9], v[39:40]
	s_wait_loadcnt 0x0
	v_mul_f64_e32 v[18:19], v[8:9], v[18:19]
	ds_store_2addr_b64 v6, v[41:42], v[39:40] offset0:1 offset1:2
	ds_store_b64 v6, v[18:19] offset:24
.LBB8_19:                               ;   in Loop: Header=BB8_14 Depth=2
	s_and_not1_b32 vcc_lo, exec_lo, s13
	s_wait_alu 0xfffe
	s_cbranch_vccnz .LBB8_21
; %bb.20:                               ;   in Loop: Header=BB8_14 Depth=2
	s_clause 0x1
	global_load_b128 v[39:42], v[4:5], off offset:8
	global_load_b64 v[4:5], v[4:5], off offset:24
	s_wait_loadcnt 0x1
	v_mul_f64_e32 v[18:19], v[8:9], v[39:40]
	v_mul_f64_e32 v[39:40], v[8:9], v[41:42]
	s_wait_loadcnt 0x0
	v_mul_f64_e32 v[4:5], v[8:9], v[4:5]
	ds_store_2addr_b64 v6, v[18:19], v[39:40] offset0:1 offset1:2
	ds_store_b64 v6, v[4:5] offset:24
.LBB8_21:                               ;   in Loop: Header=BB8_14 Depth=2
	s_or_b32 exec_lo, exec_lo, s12
	s_mov_b32 s12, -1
	s_and_saveexec_b32 s13, s0
	s_cbranch_execz .LBB8_13
; %bb.22:                               ;   in Loop: Header=BB8_14 Depth=2
	v_add_nc_u32_e32 v12, 32, v12
	v_add_nc_u32_e32 v16, 0x80, v16
	s_delay_alu instid0(VALU_DEP_2)
	v_cmp_ge_i32_e32 vcc_lo, v12, v22
	s_or_not1_b32 s12, vcc_lo, exec_lo
	s_branch .LBB8_13
.LBB8_23:                               ;   in Loop: Header=BB8_11 Depth=1
	s_or_b32 exec_lo, exec_lo, s7
.LBB8_24:                               ;   in Loop: Header=BB8_11 Depth=1
	s_wait_alu 0xfffe
	s_or_b32 exec_lo, exec_lo, s6
	s_delay_alu instid0(SALU_CYCLE_1)
	s_mov_b32 s6, exec_lo
	s_wait_loadcnt_dscnt 0x0
	global_inv scope:SCOPE_SE
	v_cmpx_lt_i32_e64 v14, v23
	s_cbranch_execz .LBB8_37
; %bb.25:                               ;   in Loop: Header=BB8_11 Depth=1
	v_lshlrev_b32_e32 v16, 2, v14
	s_mov_b32 s7, 0
	s_branch .LBB8_27
.LBB8_26:                               ;   in Loop: Header=BB8_27 Depth=2
	s_or_b32 exec_lo, exec_lo, s13
	s_delay_alu instid0(SALU_CYCLE_1)
	s_and_b32 s0, exec_lo, s12
	s_wait_alu 0xfffe
	s_or_b32 s7, s0, s7
	s_wait_alu 0xfffe
	s_and_not1_b32 exec_lo, exec_lo, s7
	s_cbranch_execz .LBB8_36
.LBB8_27:                               ;   Parent Loop BB8_11 Depth=1
                                        ; =>  This Inner Loop Header: Depth=2
	v_ashrrev_i32_e32 v15, 31, v14
	s_mov_b32 s12, exec_lo
	s_delay_alu instid0(VALU_DEP_1) | instskip(NEXT) | instid1(VALU_DEP_1)
	v_lshlrev_b64_e32 v[4:5], 2, v[14:15]
	v_add_co_u32 v4, vcc_lo, s14, v4
	s_wait_alu 0xfffd
	s_delay_alu instid0(VALU_DEP_2) | instskip(SKIP_3) | instid1(VALU_DEP_1)
	v_add_co_ci_u32_e64 v5, null, s15, v5, vcc_lo
	global_load_b32 v4, v[4:5], off
	s_wait_loadcnt 0x0
	v_subrev_nc_u32_e32 v4, s5, v4
	v_sub_nc_u32_e32 v15, v4, v28
	s_delay_alu instid0(VALU_DEP_1)
	v_cmp_gt_u32_e64 s0, 32, v15
	v_cmpx_lt_u32_e32 31, v15
	s_xor_b32 s12, exec_lo, s12
; %bb.28:                               ;   in Loop: Header=BB8_27 Depth=2
	v_min_i32_e32 v38, v4, v38
                                        ; implicit-def: $vgpr15
; %bb.29:                               ;   in Loop: Header=BB8_27 Depth=2
	s_and_not1_saveexec_b32 s12, s12
	s_cbranch_execz .LBB8_34
; %bb.30:                               ;   in Loop: Header=BB8_27 Depth=2
	v_lshlrev_b64_e32 v[4:5], 3, v[16:17]
	s_mov_b32 s13, -1
	s_wait_kmcnt 0x0
	s_delay_alu instid0(VALU_DEP_1) | instskip(SKIP_1) | instid1(VALU_DEP_2)
	v_add_co_u32 v18, vcc_lo, s8, v4
	s_wait_alu 0xfffd
	v_add_co_ci_u32_e64 v19, null, s9, v5, vcc_lo
	v_lshlrev_b32_e32 v4, 5, v15
	v_add_nc_u32_e32 v15, v21, v15
	s_and_not1_b32 vcc_lo, exec_lo, s1
	global_load_b64 v[39:40], v[18:19], off
	v_add_nc_u32_e32 v13, v20, v4
	ds_load_b128 v[4:7], v13
	s_wait_loadcnt_dscnt 0x0
	v_fma_f64 v[4:5], v[10:11], v[39:40], v[4:5]
	ds_store_b8 v15, v35
	ds_store_b64 v13, v[4:5]
	s_wait_alu 0xfffe
	s_cbranch_vccnz .LBB8_32
; %bb.31:                               ;   in Loop: Header=BB8_27 Depth=2
	s_clause 0x1
	global_load_b128 v[39:42], v[18:19], off offset:8
	global_load_b64 v[4:5], v[18:19], off offset:24
	ds_load_b128 v[43:46], v13 offset:16
	s_mov_b32 s13, 0
	s_wait_loadcnt 0x1
	v_fma_f64 v[41:42], v[10:11], v[41:42], v[6:7]
	s_wait_dscnt 0x0
	v_fma_f64 v[39:40], v[10:11], v[39:40], v[43:44]
	s_wait_loadcnt 0x0
	v_fma_f64 v[4:5], v[10:11], v[4:5], v[45:46]
	ds_store_2addr_b64 v13, v[41:42], v[39:40] offset0:1 offset1:2
	ds_store_b64 v13, v[4:5] offset:24
.LBB8_32:                               ;   in Loop: Header=BB8_27 Depth=2
	s_and_not1_b32 vcc_lo, exec_lo, s13
	s_wait_alu 0xfffe
	s_cbranch_vccnz .LBB8_34
; %bb.33:                               ;   in Loop: Header=BB8_27 Depth=2
	s_clause 0x1
	global_load_b128 v[39:42], v[18:19], off offset:8
	global_load_b64 v[4:5], v[18:19], off offset:24
	ds_load_b128 v[43:46], v13 offset:16
	s_wait_loadcnt 0x1
	v_fma_f64 v[6:7], v[10:11], v[39:40], v[6:7]
	s_wait_dscnt 0x0
	v_fma_f64 v[18:19], v[10:11], v[41:42], v[43:44]
	s_wait_loadcnt 0x0
	v_fma_f64 v[4:5], v[10:11], v[4:5], v[45:46]
	ds_store_2addr_b64 v13, v[6:7], v[18:19] offset0:1 offset1:2
	ds_store_b64 v13, v[4:5] offset:24
.LBB8_34:                               ;   in Loop: Header=BB8_27 Depth=2
	s_or_b32 exec_lo, exec_lo, s12
	s_mov_b32 s12, -1
	s_and_saveexec_b32 s13, s0
	s_cbranch_execz .LBB8_26
; %bb.35:                               ;   in Loop: Header=BB8_27 Depth=2
	v_add_nc_u32_e32 v14, 32, v14
	v_add_nc_u32_e32 v16, 0x80, v16
	s_delay_alu instid0(VALU_DEP_2)
	v_cmp_ge_i32_e32 vcc_lo, v14, v23
	s_or_not1_b32 s12, vcc_lo, exec_lo
	s_branch .LBB8_26
.LBB8_36:                               ;   in Loop: Header=BB8_11 Depth=1
	s_or_b32 exec_lo, exec_lo, s7
.LBB8_37:                               ;   in Loop: Header=BB8_11 Depth=1
	s_wait_alu 0xfffe
	s_or_b32 exec_lo, exec_lo, s6
	s_wait_loadcnt_dscnt 0x0
	global_inv scope:SCOPE_SE
	ds_load_u8 v4, v34
	s_mov_b32 s6, exec_lo
	s_wait_dscnt 0x0
	v_and_b32_e32 v5, 1, v4
	v_cmp_ne_u16_e32 vcc_lo, 0, v4
	s_delay_alu instid0(VALU_DEP_2)
	v_cmpx_eq_u32_e32 1, v5
	s_cbranch_execz .LBB8_10
; %bb.38:                               ;   in Loop: Header=BB8_11 Depth=1
	ds_load_2addr_b64 v[4:7], v25 offset1:3
	s_wait_dscnt 0x0
	s_wait_alu 0xfffd
	v_dual_mov_b32 v40, v5 :: v_dual_and_b32 v13, vcc_lo, v26
	s_delay_alu instid0(VALU_DEP_1) | instskip(NEXT) | instid1(VALU_DEP_1)
	v_bcnt_u32_b32 v13, v13, 0
	v_add3_u32 v18, v24, v13, -1
	v_mov_b32_e32 v39, v4
	ds_load_b64 v[41:42], v36
	ds_load_b64 v[4:5], v37
	v_add_nc_u32_e32 v13, v27, v28
	v_ashrrev_i32_e32 v19, 31, v18
	v_lshlrev_b32_e32 v16, 2, v18
	s_delay_alu instid0(VALU_DEP_2) | instskip(NEXT) | instid1(VALU_DEP_2)
	v_lshlrev_b64_e32 v[18:19], 2, v[18:19]
	v_lshlrev_b64_e32 v[15:16], 3, v[16:17]
	s_wait_kmcnt 0x0
	s_delay_alu instid0(VALU_DEP_2) | instskip(SKIP_1) | instid1(VALU_DEP_3)
	v_add_co_u32 v18, s0, s16, v18
	s_wait_alu 0xf1ff
	v_add_co_ci_u32_e64 v19, null, s17, v19, s0
	s_delay_alu instid0(VALU_DEP_3)
	v_add_co_u32 v15, s0, s18, v15
	s_wait_alu 0xf1ff
	v_add_co_ci_u32_e64 v16, null, s19, v16, s0
	global_store_b32 v[18:19], v13, off
	s_wait_dscnt 0x1
	global_store_b128 v[15:16], v[39:42], off
	s_wait_dscnt 0x0
	global_store_b128 v[15:16], v[4:7], off offset:16
	s_branch .LBB8_10
.LBB8_39:
	s_endpgm
	.section	.rodata,"a",@progbits
	.p2align	6, 0x0
	.amdhsa_kernel _ZN9rocsparseL39bsrgeam_wf_per_row_multipass_2_3_kernelILj256ELj2ELj32EdEEv20rocsparse_direction_iiiNS_24const_host_device_scalarIT2_EEPKiS6_PKS3_S4_S6_S6_S8_S6_PiPS3_21rocsparse_index_base_SB_SB_b
		.amdhsa_group_segment_fixed_size 8448
		.amdhsa_private_segment_fixed_size 0
		.amdhsa_kernarg_size 120
		.amdhsa_user_sgpr_count 2
		.amdhsa_user_sgpr_dispatch_ptr 0
		.amdhsa_user_sgpr_queue_ptr 0
		.amdhsa_user_sgpr_kernarg_segment_ptr 1
		.amdhsa_user_sgpr_dispatch_id 0
		.amdhsa_user_sgpr_private_segment_size 0
		.amdhsa_wavefront_size32 1
		.amdhsa_uses_dynamic_stack 0
		.amdhsa_enable_private_segment 0
		.amdhsa_system_sgpr_workgroup_id_x 1
		.amdhsa_system_sgpr_workgroup_id_y 0
		.amdhsa_system_sgpr_workgroup_id_z 0
		.amdhsa_system_sgpr_workgroup_info 0
		.amdhsa_system_vgpr_workitem_id 0
		.amdhsa_next_free_vgpr 47
		.amdhsa_next_free_sgpr 27
		.amdhsa_reserve_vcc 1
		.amdhsa_float_round_mode_32 0
		.amdhsa_float_round_mode_16_64 0
		.amdhsa_float_denorm_mode_32 3
		.amdhsa_float_denorm_mode_16_64 3
		.amdhsa_fp16_overflow 0
		.amdhsa_workgroup_processor_mode 1
		.amdhsa_memory_ordered 1
		.amdhsa_forward_progress 1
		.amdhsa_inst_pref_size 17
		.amdhsa_round_robin_scheduling 0
		.amdhsa_exception_fp_ieee_invalid_op 0
		.amdhsa_exception_fp_denorm_src 0
		.amdhsa_exception_fp_ieee_div_zero 0
		.amdhsa_exception_fp_ieee_overflow 0
		.amdhsa_exception_fp_ieee_underflow 0
		.amdhsa_exception_fp_ieee_inexact 0
		.amdhsa_exception_int_div_zero 0
	.end_amdhsa_kernel
	.section	.text._ZN9rocsparseL39bsrgeam_wf_per_row_multipass_2_3_kernelILj256ELj2ELj32EdEEv20rocsparse_direction_iiiNS_24const_host_device_scalarIT2_EEPKiS6_PKS3_S4_S6_S6_S8_S6_PiPS3_21rocsparse_index_base_SB_SB_b,"axG",@progbits,_ZN9rocsparseL39bsrgeam_wf_per_row_multipass_2_3_kernelILj256ELj2ELj32EdEEv20rocsparse_direction_iiiNS_24const_host_device_scalarIT2_EEPKiS6_PKS3_S4_S6_S6_S8_S6_PiPS3_21rocsparse_index_base_SB_SB_b,comdat
.Lfunc_end8:
	.size	_ZN9rocsparseL39bsrgeam_wf_per_row_multipass_2_3_kernelILj256ELj2ELj32EdEEv20rocsparse_direction_iiiNS_24const_host_device_scalarIT2_EEPKiS6_PKS3_S4_S6_S6_S8_S6_PiPS3_21rocsparse_index_base_SB_SB_b, .Lfunc_end8-_ZN9rocsparseL39bsrgeam_wf_per_row_multipass_2_3_kernelILj256ELj2ELj32EdEEv20rocsparse_direction_iiiNS_24const_host_device_scalarIT2_EEPKiS6_PKS3_S4_S6_S6_S8_S6_PiPS3_21rocsparse_index_base_SB_SB_b
                                        ; -- End function
	.set _ZN9rocsparseL39bsrgeam_wf_per_row_multipass_2_3_kernelILj256ELj2ELj32EdEEv20rocsparse_direction_iiiNS_24const_host_device_scalarIT2_EEPKiS6_PKS3_S4_S6_S6_S8_S6_PiPS3_21rocsparse_index_base_SB_SB_b.num_vgpr, 47
	.set _ZN9rocsparseL39bsrgeam_wf_per_row_multipass_2_3_kernelILj256ELj2ELj32EdEEv20rocsparse_direction_iiiNS_24const_host_device_scalarIT2_EEPKiS6_PKS3_S4_S6_S6_S8_S6_PiPS3_21rocsparse_index_base_SB_SB_b.num_agpr, 0
	.set _ZN9rocsparseL39bsrgeam_wf_per_row_multipass_2_3_kernelILj256ELj2ELj32EdEEv20rocsparse_direction_iiiNS_24const_host_device_scalarIT2_EEPKiS6_PKS3_S4_S6_S6_S8_S6_PiPS3_21rocsparse_index_base_SB_SB_b.numbered_sgpr, 27
	.set _ZN9rocsparseL39bsrgeam_wf_per_row_multipass_2_3_kernelILj256ELj2ELj32EdEEv20rocsparse_direction_iiiNS_24const_host_device_scalarIT2_EEPKiS6_PKS3_S4_S6_S6_S8_S6_PiPS3_21rocsparse_index_base_SB_SB_b.num_named_barrier, 0
	.set _ZN9rocsparseL39bsrgeam_wf_per_row_multipass_2_3_kernelILj256ELj2ELj32EdEEv20rocsparse_direction_iiiNS_24const_host_device_scalarIT2_EEPKiS6_PKS3_S4_S6_S6_S8_S6_PiPS3_21rocsparse_index_base_SB_SB_b.private_seg_size, 0
	.set _ZN9rocsparseL39bsrgeam_wf_per_row_multipass_2_3_kernelILj256ELj2ELj32EdEEv20rocsparse_direction_iiiNS_24const_host_device_scalarIT2_EEPKiS6_PKS3_S4_S6_S6_S8_S6_PiPS3_21rocsparse_index_base_SB_SB_b.uses_vcc, 1
	.set _ZN9rocsparseL39bsrgeam_wf_per_row_multipass_2_3_kernelILj256ELj2ELj32EdEEv20rocsparse_direction_iiiNS_24const_host_device_scalarIT2_EEPKiS6_PKS3_S4_S6_S6_S8_S6_PiPS3_21rocsparse_index_base_SB_SB_b.uses_flat_scratch, 0
	.set _ZN9rocsparseL39bsrgeam_wf_per_row_multipass_2_3_kernelILj256ELj2ELj32EdEEv20rocsparse_direction_iiiNS_24const_host_device_scalarIT2_EEPKiS6_PKS3_S4_S6_S6_S8_S6_PiPS3_21rocsparse_index_base_SB_SB_b.has_dyn_sized_stack, 0
	.set _ZN9rocsparseL39bsrgeam_wf_per_row_multipass_2_3_kernelILj256ELj2ELj32EdEEv20rocsparse_direction_iiiNS_24const_host_device_scalarIT2_EEPKiS6_PKS3_S4_S6_S6_S8_S6_PiPS3_21rocsparse_index_base_SB_SB_b.has_recursion, 0
	.set _ZN9rocsparseL39bsrgeam_wf_per_row_multipass_2_3_kernelILj256ELj2ELj32EdEEv20rocsparse_direction_iiiNS_24const_host_device_scalarIT2_EEPKiS6_PKS3_S4_S6_S6_S8_S6_PiPS3_21rocsparse_index_base_SB_SB_b.has_indirect_call, 0
	.section	.AMDGPU.csdata,"",@progbits
; Kernel info:
; codeLenInByte = 2136
; TotalNumSgprs: 29
; NumVgprs: 47
; ScratchSize: 0
; MemoryBound: 0
; FloatMode: 240
; IeeeMode: 1
; LDSByteSize: 8448 bytes/workgroup (compile time only)
; SGPRBlocks: 0
; VGPRBlocks: 5
; NumSGPRsForWavesPerEU: 29
; NumVGPRsForWavesPerEU: 47
; Occupancy: 16
; WaveLimiterHint : 1
; COMPUTE_PGM_RSRC2:SCRATCH_EN: 0
; COMPUTE_PGM_RSRC2:USER_SGPR: 2
; COMPUTE_PGM_RSRC2:TRAP_HANDLER: 0
; COMPUTE_PGM_RSRC2:TGID_X_EN: 1
; COMPUTE_PGM_RSRC2:TGID_Y_EN: 0
; COMPUTE_PGM_RSRC2:TGID_Z_EN: 0
; COMPUTE_PGM_RSRC2:TIDIG_COMP_CNT: 0
	.section	.text._ZN9rocsparseL39bsrgeam_wf_per_row_multipass_2_3_kernelILj256ELj2ELj64EdEEv20rocsparse_direction_iiiNS_24const_host_device_scalarIT2_EEPKiS6_PKS3_S4_S6_S6_S8_S6_PiPS3_21rocsparse_index_base_SB_SB_b,"axG",@progbits,_ZN9rocsparseL39bsrgeam_wf_per_row_multipass_2_3_kernelILj256ELj2ELj64EdEEv20rocsparse_direction_iiiNS_24const_host_device_scalarIT2_EEPKiS6_PKS3_S4_S6_S6_S8_S6_PiPS3_21rocsparse_index_base_SB_SB_b,comdat
	.globl	_ZN9rocsparseL39bsrgeam_wf_per_row_multipass_2_3_kernelILj256ELj2ELj64EdEEv20rocsparse_direction_iiiNS_24const_host_device_scalarIT2_EEPKiS6_PKS3_S4_S6_S6_S8_S6_PiPS3_21rocsparse_index_base_SB_SB_b ; -- Begin function _ZN9rocsparseL39bsrgeam_wf_per_row_multipass_2_3_kernelILj256ELj2ELj64EdEEv20rocsparse_direction_iiiNS_24const_host_device_scalarIT2_EEPKiS6_PKS3_S4_S6_S6_S8_S6_PiPS3_21rocsparse_index_base_SB_SB_b
	.p2align	8
	.type	_ZN9rocsparseL39bsrgeam_wf_per_row_multipass_2_3_kernelILj256ELj2ELj64EdEEv20rocsparse_direction_iiiNS_24const_host_device_scalarIT2_EEPKiS6_PKS3_S4_S6_S6_S8_S6_PiPS3_21rocsparse_index_base_SB_SB_b,@function
_ZN9rocsparseL39bsrgeam_wf_per_row_multipass_2_3_kernelILj256ELj2ELj64EdEEv20rocsparse_direction_iiiNS_24const_host_device_scalarIT2_EEPKiS6_PKS3_S4_S6_S6_S8_S6_PiPS3_21rocsparse_index_base_SB_SB_b: ; @_ZN9rocsparseL39bsrgeam_wf_per_row_multipass_2_3_kernelILj256ELj2ELj64EdEEv20rocsparse_direction_iiiNS_24const_host_device_scalarIT2_EEPKiS6_PKS3_S4_S6_S6_S8_S6_PiPS3_21rocsparse_index_base_SB_SB_b
; %bb.0:
	s_clause 0x2
	s_load_b128 s[4:7], s[0:1], 0x68
	s_load_b64 s[8:9], s[0:1], 0x10
	s_load_b64 s[2:3], s[0:1], 0x30
	s_wait_kmcnt 0x0
	s_bitcmp1_b32 s7, 0
	v_dual_mov_b32 v8, s8 :: v_dual_mov_b32 v9, s9
	s_cselect_b32 s7, -1, 0
	s_delay_alu instid0(SALU_CYCLE_1)
	s_and_b32 vcc_lo, exec_lo, s7
	s_xor_b32 s7, s7, -1
	s_cbranch_vccnz .LBB9_2
; %bb.1:
	v_dual_mov_b32 v1, s8 :: v_dual_mov_b32 v2, s9
	flat_load_b64 v[8:9], v[1:2]
.LBB9_2:
	v_dual_mov_b32 v11, s3 :: v_dual_mov_b32 v10, s2
	s_and_not1_b32 vcc_lo, exec_lo, s7
	s_cbranch_vccnz .LBB9_4
; %bb.3:
	v_dual_mov_b32 v1, s2 :: v_dual_mov_b32 v2, s3
	flat_load_b64 v[10:11], v[1:2]
.LBB9_4:
	s_load_b96 s[24:26], s[0:1], 0x0
	v_lshrrev_b32_e32 v7, 6, v0
	s_lshl_b32 s2, ttmp9, 2
	s_wait_alu 0xfffe
	s_delay_alu instid0(VALU_DEP_1) | instskip(SKIP_2) | instid1(VALU_DEP_1)
	v_and_or_b32 v1, 0x3fffffc, s2, v7
	s_mov_b32 s2, exec_lo
	s_wait_kmcnt 0x0
	v_cmpx_gt_i32_e64 s25, v1
	s_cbranch_execz .LBB9_39
; %bb.5:
	s_clause 0x2
	s_load_b128 s[8:11], s[0:1], 0x18
	s_load_b128 s[12:15], s[0:1], 0x38
	s_load_b64 s[2:3], s[0:1], 0x50
	v_lshlrev_b32_e32 v1, 2, v1
	s_wait_kmcnt 0x0
	s_clause 0x2
	global_load_b64 v[5:6], v1, s[8:9]
	global_load_b64 v[3:4], v1, s[12:13]
	global_load_b32 v12, v1, s[2:3]
	s_wait_loadcnt 0x2
	v_subrev_nc_u32_e32 v1, s4, v5
	v_cmp_lt_i32_e32 vcc_lo, v5, v6
	v_mov_b32_e32 v5, s26
	s_and_saveexec_b32 s2, vcc_lo
	s_cbranch_execz .LBB9_7
; %bb.6:
	v_ashrrev_i32_e32 v2, 31, v1
	s_delay_alu instid0(VALU_DEP_1) | instskip(NEXT) | instid1(VALU_DEP_1)
	v_lshlrev_b64_e32 v[13:14], 2, v[1:2]
	v_add_co_u32 v13, vcc_lo, s10, v13
	s_delay_alu instid0(VALU_DEP_1)
	v_add_co_ci_u32_e64 v14, null, s11, v14, vcc_lo
	global_load_b32 v2, v[13:14], off
	s_wait_loadcnt 0x0
	v_subrev_nc_u32_e32 v5, s4, v2
.LBB9_7:
	s_wait_alu 0xfffe
	s_or_b32 exec_lo, exec_lo, s2
	s_clause 0x2
	s_load_b128 s[16:19], s[0:1], 0x58
	s_load_b64 s[2:3], s[0:1], 0x28
	s_load_b64 s[8:9], s[0:1], 0x48
	s_wait_loadcnt 0x1
	v_subrev_nc_u32_e32 v2, s5, v3
	v_cmp_lt_i32_e32 vcc_lo, v3, v4
	v_mov_b32_e32 v3, s26
	s_and_saveexec_b32 s0, vcc_lo
	s_cbranch_execz .LBB9_9
; %bb.8:
	v_ashrrev_i32_e32 v3, 31, v2
	s_delay_alu instid0(VALU_DEP_1) | instskip(NEXT) | instid1(VALU_DEP_1)
	v_lshlrev_b64_e32 v[13:14], 2, v[2:3]
	v_add_co_u32 v13, vcc_lo, s14, v13
	s_wait_alu 0xfffd
	s_delay_alu instid0(VALU_DEP_2)
	v_add_co_ci_u32_e64 v14, null, s15, v14, vcc_lo
	global_load_b32 v3, v[13:14], off
	s_wait_loadcnt 0x0
	v_subrev_nc_u32_e32 v3, s5, v3
.LBB9_9:
	s_or_b32 exec_lo, exec_lo, s0
	s_movk_i32 s0, 0xc0
	v_subrev_nc_u32_e32 v24, s5, v4
	v_and_or_b32 v22, v0, s0, 0x2000
	v_mbcnt_lo_u32_b32 v4, -1, 0
	v_and_b32_e32 v0, 63, v0
	s_wait_loadcnt 0x0
	v_subrev_nc_u32_e32 v25, s6, v12
	v_min_i32_e32 v29, v3, v5
	s_mov_b32 s20, 0
	v_xor_b32_e32 v3, 16, v4
	v_add_nc_u32_e32 v12, v1, v0
	v_or_b32_e32 v1, 32, v4
	s_mov_b32 s21, s20
	s_mov_b32 s22, s20
	;; [unrolled: 1-line block ×3, first 2 shown]
	v_xor_b32_e32 v5, 2, v4
	v_cmp_gt_i32_e32 vcc_lo, 32, v1
	v_subrev_nc_u32_e32 v23, s4, v6
	v_xor_b32_e32 v6, 1, v4
	s_cmp_lg_u32 s24, 0
	s_wait_alu 0xfffd
	v_dual_mov_b32 v18, 0 :: v_dual_cndmask_b32 v1, v4, v1
	v_add_nc_u32_e32 v14, v2, v0
	v_xor_b32_e32 v2, 63, v0
	v_cmp_gt_i32_e32 vcc_lo, 32, v3
	v_add_nc_u32_e32 v27, s6, v0
	v_lshlrev_b32_e32 v28, 2, v1
	v_xor_b32_e32 v1, 8, v4
	v_lshrrev_b64 v[16:17], v2, -1
	s_wait_alu 0xfffd
	v_cndmask_b32_e32 v2, v4, v3, vcc_lo
	v_xor_b32_e32 v3, 4, v4
	s_cselect_b32 s1, -1, 0
	v_cmp_gt_i32_e32 vcc_lo, 32, v1
	s_cmp_eq_u32 s24, 0
	v_add_nc_u32_e32 v35, v22, v0
	s_cselect_b32 s0, 8, 16
	s_cselect_b32 s6, 16, 8
	s_wait_alu 0xfffd
	v_cndmask_b32_e32 v1, v4, v1, vcc_lo
	v_cmp_gt_i32_e32 vcc_lo, 32, v3
	v_lshlrev_b32_e32 v30, 2, v2
	s_delay_alu instid0(VALU_DEP_3) | instskip(SKIP_4) | instid1(VALU_DEP_2)
	v_lshlrev_b32_e32 v31, 2, v1
	s_wait_alu 0xfffd
	v_cndmask_b32_e32 v3, v4, v3, vcc_lo
	v_cmp_gt_i32_e32 vcc_lo, 32, v5
	s_wait_alu 0xfffd
	v_dual_cndmask_b32 v5, v4, v5 :: v_dual_lshlrev_b32 v32, 2, v3
	v_cmp_gt_i32_e32 vcc_lo, 32, v6
	v_lshlrev_b32_e32 v21, 11, v7
	s_wait_alu 0xfffd
	s_delay_alu instid0(VALU_DEP_3) | instskip(NEXT) | instid1(VALU_DEP_2)
	v_dual_cndmask_b32 v4, v4, v6 :: v_dual_lshlrev_b32 v33, 2, v5
	v_lshl_or_b32 v26, v0, 5, v21
	v_dual_mov_b32 v0, s20 :: v_dual_mov_b32 v1, s21
	v_mov_b32_e32 v2, s22
	s_delay_alu instid0(VALU_DEP_4)
	v_dual_mov_b32 v3, s23 :: v_dual_lshlrev_b32 v34, 2, v4
	s_wait_alu 0xfffe
	v_dual_mov_b32 v36, 1 :: v_dual_add_nc_u32 v37, s0, v26
	v_add_nc_u32_e32 v38, s6, v26
	s_branch .LBB9_11
.LBB9_10:                               ;   in Loop: Header=BB9_11 Depth=1
	s_wait_alu 0xfffe
	s_or_b32 exec_lo, exec_lo, s6
	ds_bpermute_b32 v4, v28, v39
	s_bcnt1_i32_b32 s6, vcc_lo
	s_wait_alu 0xfffe
	v_add_nc_u32_e32 v25, s6, v25
	s_wait_dscnt 0x0
	v_min_i32_e32 v4, v4, v39
	ds_bpermute_b32 v5, v30, v4
	s_wait_dscnt 0x0
	v_min_i32_e32 v4, v5, v4
	ds_bpermute_b32 v5, v31, v4
	;; [unrolled: 3-line block ×5, first 2 shown]
	s_wait_dscnt 0x0
	v_min_i32_e32 v29, v5, v4
	s_delay_alu instid0(VALU_DEP_1)
	v_cmp_le_i32_e64 s0, s26, v29
	s_or_b32 s20, s0, s20
	s_wait_alu 0xfffe
	s_and_not1_b32 exec_lo, exec_lo, s20
	s_cbranch_execz .LBB9_39
.LBB9_11:                               ; =>This Loop Header: Depth=1
                                        ;     Child Loop BB9_14 Depth 2
                                        ;     Child Loop BB9_27 Depth 2
	v_mov_b32_e32 v39, s26
	s_mov_b32 s6, exec_lo
	ds_store_b8 v35, v18
	ds_store_b128 v26, v[0:3]
	ds_store_b128 v26, v[0:3] offset:16
	s_wait_dscnt 0x0
	global_inv scope:SCOPE_SE
	v_cmpx_lt_i32_e64 v12, v23
	s_cbranch_execz .LBB9_24
; %bb.12:                               ;   in Loop: Header=BB9_11 Depth=1
	v_lshlrev_b32_e32 v17, 2, v12
	v_mov_b32_e32 v39, s26
	s_mov_b32 s7, 0
	s_branch .LBB9_14
.LBB9_13:                               ;   in Loop: Header=BB9_14 Depth=2
	s_or_b32 exec_lo, exec_lo, s13
	s_delay_alu instid0(SALU_CYCLE_1)
	s_and_b32 s0, exec_lo, s12
	s_wait_alu 0xfffe
	s_or_b32 s7, s0, s7
	s_wait_alu 0xfffe
	s_and_not1_b32 exec_lo, exec_lo, s7
	s_cbranch_execz .LBB9_23
.LBB9_14:                               ;   Parent Loop BB9_11 Depth=1
                                        ; =>  This Inner Loop Header: Depth=2
	v_ashrrev_i32_e32 v13, 31, v12
	s_mov_b32 s12, exec_lo
	s_delay_alu instid0(VALU_DEP_1) | instskip(NEXT) | instid1(VALU_DEP_1)
	v_lshlrev_b64_e32 v[4:5], 2, v[12:13]
	v_add_co_u32 v4, vcc_lo, s10, v4
	s_wait_alu 0xfffd
	s_delay_alu instid0(VALU_DEP_2) | instskip(SKIP_3) | instid1(VALU_DEP_1)
	v_add_co_ci_u32_e64 v5, null, s11, v5, vcc_lo
	global_load_b32 v4, v[4:5], off
	s_wait_loadcnt 0x0
	v_subrev_nc_u32_e32 v4, s4, v4
	v_sub_nc_u32_e32 v6, v4, v29
	s_delay_alu instid0(VALU_DEP_1)
	v_cmp_gt_u32_e64 s0, 64, v6
	v_cmpx_lt_u32_e32 63, v6
	s_xor_b32 s12, exec_lo, s12
; %bb.15:                               ;   in Loop: Header=BB9_14 Depth=2
	v_min_i32_e32 v39, v4, v39
                                        ; implicit-def: $vgpr6
; %bb.16:                               ;   in Loop: Header=BB9_14 Depth=2
	s_and_not1_saveexec_b32 s12, s12
	s_cbranch_execz .LBB9_21
; %bb.17:                               ;   in Loop: Header=BB9_14 Depth=2
	v_lshlrev_b64_e32 v[4:5], 3, v[17:18]
	v_lshlrev_b32_e32 v7, 5, v6
	v_add_nc_u32_e32 v13, v22, v6
	s_mov_b32 s13, -1
	s_delay_alu instid0(VALU_DEP_2)
	v_add_nc_u32_e32 v6, v21, v7
	s_wait_kmcnt 0x0
	v_add_co_u32 v4, vcc_lo, s2, v4
	s_wait_alu 0xfffd
	v_add_co_ci_u32_e64 v5, null, s3, v5, vcc_lo
	s_and_not1_b32 vcc_lo, exec_lo, s1
	global_load_b64 v[19:20], v[4:5], off
	s_wait_loadcnt 0x0
	v_mul_f64_e32 v[19:20], v[8:9], v[19:20]
	ds_store_b8 v13, v36
	ds_store_b64 v6, v[19:20]
	s_wait_alu 0xfffe
	s_cbranch_vccnz .LBB9_19
; %bb.18:                               ;   in Loop: Header=BB9_14 Depth=2
	s_clause 0x1
	global_load_b128 v[40:43], v[4:5], off offset:8
	global_load_b64 v[19:20], v[4:5], off offset:24
	s_mov_b32 s13, 0
	s_wait_loadcnt 0x1
	v_mul_f64_e32 v[42:43], v[8:9], v[42:43]
	v_mul_f64_e32 v[40:41], v[8:9], v[40:41]
	s_wait_loadcnt 0x0
	v_mul_f64_e32 v[19:20], v[8:9], v[19:20]
	ds_store_2addr_b64 v6, v[42:43], v[40:41] offset0:1 offset1:2
	ds_store_b64 v6, v[19:20] offset:24
.LBB9_19:                               ;   in Loop: Header=BB9_14 Depth=2
	s_and_not1_b32 vcc_lo, exec_lo, s13
	s_wait_alu 0xfffe
	s_cbranch_vccnz .LBB9_21
; %bb.20:                               ;   in Loop: Header=BB9_14 Depth=2
	s_clause 0x1
	global_load_b128 v[40:43], v[4:5], off offset:8
	global_load_b64 v[4:5], v[4:5], off offset:24
	s_wait_loadcnt 0x1
	v_mul_f64_e32 v[19:20], v[8:9], v[40:41]
	v_mul_f64_e32 v[40:41], v[8:9], v[42:43]
	s_wait_loadcnt 0x0
	v_mul_f64_e32 v[4:5], v[8:9], v[4:5]
	ds_store_2addr_b64 v6, v[19:20], v[40:41] offset0:1 offset1:2
	ds_store_b64 v6, v[4:5] offset:24
.LBB9_21:                               ;   in Loop: Header=BB9_14 Depth=2
	s_or_b32 exec_lo, exec_lo, s12
	s_mov_b32 s12, -1
	s_and_saveexec_b32 s13, s0
	s_cbranch_execz .LBB9_13
; %bb.22:                               ;   in Loop: Header=BB9_14 Depth=2
	v_add_nc_u32_e32 v12, 64, v12
	v_add_nc_u32_e32 v17, 0x100, v17
	s_delay_alu instid0(VALU_DEP_2)
	v_cmp_ge_i32_e32 vcc_lo, v12, v23
	s_or_not1_b32 s12, vcc_lo, exec_lo
	s_branch .LBB9_13
.LBB9_23:                               ;   in Loop: Header=BB9_11 Depth=1
	s_or_b32 exec_lo, exec_lo, s7
.LBB9_24:                               ;   in Loop: Header=BB9_11 Depth=1
	s_wait_alu 0xfffe
	s_or_b32 exec_lo, exec_lo, s6
	s_delay_alu instid0(SALU_CYCLE_1)
	s_mov_b32 s6, exec_lo
	s_wait_loadcnt_dscnt 0x0
	global_inv scope:SCOPE_SE
	v_cmpx_lt_i32_e64 v14, v24
	s_cbranch_execz .LBB9_37
; %bb.25:                               ;   in Loop: Header=BB9_11 Depth=1
	v_lshlrev_b32_e32 v17, 2, v14
	s_mov_b32 s7, 0
	s_branch .LBB9_27
.LBB9_26:                               ;   in Loop: Header=BB9_27 Depth=2
	s_or_b32 exec_lo, exec_lo, s13
	s_delay_alu instid0(SALU_CYCLE_1)
	s_and_b32 s0, exec_lo, s12
	s_wait_alu 0xfffe
	s_or_b32 s7, s0, s7
	s_wait_alu 0xfffe
	s_and_not1_b32 exec_lo, exec_lo, s7
	s_cbranch_execz .LBB9_36
.LBB9_27:                               ;   Parent Loop BB9_11 Depth=1
                                        ; =>  This Inner Loop Header: Depth=2
	v_ashrrev_i32_e32 v15, 31, v14
	s_mov_b32 s12, exec_lo
	s_delay_alu instid0(VALU_DEP_1) | instskip(NEXT) | instid1(VALU_DEP_1)
	v_lshlrev_b64_e32 v[4:5], 2, v[14:15]
	v_add_co_u32 v4, vcc_lo, s14, v4
	s_wait_alu 0xfffd
	s_delay_alu instid0(VALU_DEP_2) | instskip(SKIP_3) | instid1(VALU_DEP_1)
	v_add_co_ci_u32_e64 v5, null, s15, v5, vcc_lo
	global_load_b32 v4, v[4:5], off
	s_wait_loadcnt 0x0
	v_subrev_nc_u32_e32 v4, s5, v4
	v_sub_nc_u32_e32 v15, v4, v29
	s_delay_alu instid0(VALU_DEP_1)
	v_cmp_gt_u32_e64 s0, 64, v15
	v_cmpx_lt_u32_e32 63, v15
	s_xor_b32 s12, exec_lo, s12
; %bb.28:                               ;   in Loop: Header=BB9_27 Depth=2
	v_min_i32_e32 v39, v4, v39
                                        ; implicit-def: $vgpr15
; %bb.29:                               ;   in Loop: Header=BB9_27 Depth=2
	s_and_not1_saveexec_b32 s12, s12
	s_cbranch_execz .LBB9_34
; %bb.30:                               ;   in Loop: Header=BB9_27 Depth=2
	v_lshlrev_b64_e32 v[4:5], 3, v[17:18]
	s_mov_b32 s13, -1
	s_wait_kmcnt 0x0
	s_delay_alu instid0(VALU_DEP_1) | instskip(SKIP_1) | instid1(VALU_DEP_2)
	v_add_co_u32 v19, vcc_lo, s8, v4
	s_wait_alu 0xfffd
	v_add_co_ci_u32_e64 v20, null, s9, v5, vcc_lo
	v_lshlrev_b32_e32 v4, 5, v15
	v_add_nc_u32_e32 v15, v22, v15
	s_and_not1_b32 vcc_lo, exec_lo, s1
	global_load_b64 v[40:41], v[19:20], off
	v_add_nc_u32_e32 v13, v21, v4
	ds_load_b128 v[4:7], v13
	s_wait_loadcnt_dscnt 0x0
	v_fma_f64 v[4:5], v[10:11], v[40:41], v[4:5]
	ds_store_b8 v15, v36
	ds_store_b64 v13, v[4:5]
	s_wait_alu 0xfffe
	s_cbranch_vccnz .LBB9_32
; %bb.31:                               ;   in Loop: Header=BB9_27 Depth=2
	s_clause 0x1
	global_load_b128 v[40:43], v[19:20], off offset:8
	global_load_b64 v[4:5], v[19:20], off offset:24
	ds_load_b128 v[44:47], v13 offset:16
	s_mov_b32 s13, 0
	s_wait_loadcnt 0x1
	v_fma_f64 v[42:43], v[10:11], v[42:43], v[6:7]
	s_wait_dscnt 0x0
	v_fma_f64 v[40:41], v[10:11], v[40:41], v[44:45]
	s_wait_loadcnt 0x0
	v_fma_f64 v[4:5], v[10:11], v[4:5], v[46:47]
	ds_store_2addr_b64 v13, v[42:43], v[40:41] offset0:1 offset1:2
	ds_store_b64 v13, v[4:5] offset:24
.LBB9_32:                               ;   in Loop: Header=BB9_27 Depth=2
	s_and_not1_b32 vcc_lo, exec_lo, s13
	s_wait_alu 0xfffe
	s_cbranch_vccnz .LBB9_34
; %bb.33:                               ;   in Loop: Header=BB9_27 Depth=2
	s_clause 0x1
	global_load_b128 v[40:43], v[19:20], off offset:8
	global_load_b64 v[4:5], v[19:20], off offset:24
	ds_load_b128 v[44:47], v13 offset:16
	s_wait_loadcnt 0x1
	v_fma_f64 v[6:7], v[10:11], v[40:41], v[6:7]
	s_wait_dscnt 0x0
	v_fma_f64 v[19:20], v[10:11], v[42:43], v[44:45]
	s_wait_loadcnt 0x0
	v_fma_f64 v[4:5], v[10:11], v[4:5], v[46:47]
	ds_store_2addr_b64 v13, v[6:7], v[19:20] offset0:1 offset1:2
	ds_store_b64 v13, v[4:5] offset:24
.LBB9_34:                               ;   in Loop: Header=BB9_27 Depth=2
	s_or_b32 exec_lo, exec_lo, s12
	s_mov_b32 s12, -1
	s_and_saveexec_b32 s13, s0
	s_cbranch_execz .LBB9_26
; %bb.35:                               ;   in Loop: Header=BB9_27 Depth=2
	v_add_nc_u32_e32 v14, 64, v14
	v_add_nc_u32_e32 v17, 0x100, v17
	s_delay_alu instid0(VALU_DEP_2)
	v_cmp_ge_i32_e32 vcc_lo, v14, v24
	s_or_not1_b32 s12, vcc_lo, exec_lo
	s_branch .LBB9_26
.LBB9_36:                               ;   in Loop: Header=BB9_11 Depth=1
	s_or_b32 exec_lo, exec_lo, s7
.LBB9_37:                               ;   in Loop: Header=BB9_11 Depth=1
	s_wait_alu 0xfffe
	s_or_b32 exec_lo, exec_lo, s6
	s_wait_loadcnt_dscnt 0x0
	global_inv scope:SCOPE_SE
	ds_load_u8 v4, v35
	s_mov_b32 s6, exec_lo
	s_wait_dscnt 0x0
	v_and_b32_e32 v5, 1, v4
	v_cmp_ne_u16_e32 vcc_lo, 0, v4
	s_delay_alu instid0(VALU_DEP_2)
	v_cmpx_eq_u32_e32 1, v5
	s_cbranch_execz .LBB9_10
; %bb.38:                               ;   in Loop: Header=BB9_11 Depth=1
	ds_load_2addr_b64 v[4:7], v26 offset1:3
	s_wait_dscnt 0x0
	s_wait_alu 0xfffd
	v_dual_mov_b32 v40, v4 :: v_dual_and_b32 v13, vcc_lo, v16
	s_delay_alu instid0(VALU_DEP_1)
	v_bcnt_u32_b32 v13, v13, 0
	v_mov_b32_e32 v41, v5
	ds_load_b64 v[42:43], v37
	ds_load_b64 v[4:5], v38
	v_add3_u32 v19, v25, v13, -1
	v_add_nc_u32_e32 v13, v27, v29
	s_delay_alu instid0(VALU_DEP_2) | instskip(SKIP_1) | instid1(VALU_DEP_2)
	v_ashrrev_i32_e32 v20, 31, v19
	v_lshlrev_b32_e32 v17, 2, v19
	v_lshlrev_b64_e32 v[19:20], 2, v[19:20]
	s_delay_alu instid0(VALU_DEP_2) | instskip(SKIP_1) | instid1(VALU_DEP_2)
	v_lshlrev_b64_e32 v[44:45], 3, v[17:18]
	s_wait_kmcnt 0x0
	v_add_co_u32 v19, s0, s16, v19
	s_wait_alu 0xf1ff
	s_delay_alu instid0(VALU_DEP_3) | instskip(NEXT) | instid1(VALU_DEP_3)
	v_add_co_ci_u32_e64 v20, null, s17, v20, s0
	v_add_co_u32 v44, s0, s18, v44
	s_wait_alu 0xf1ff
	v_add_co_ci_u32_e64 v45, null, s19, v45, s0
	global_store_b32 v[19:20], v13, off
	s_wait_dscnt 0x1
	global_store_b128 v[44:45], v[40:43], off
	s_wait_dscnt 0x0
	global_store_b128 v[44:45], v[4:7], off offset:16
	s_branch .LBB9_10
.LBB9_39:
	s_endpgm
	.section	.rodata,"a",@progbits
	.p2align	6, 0x0
	.amdhsa_kernel _ZN9rocsparseL39bsrgeam_wf_per_row_multipass_2_3_kernelILj256ELj2ELj64EdEEv20rocsparse_direction_iiiNS_24const_host_device_scalarIT2_EEPKiS6_PKS3_S4_S6_S6_S8_S6_PiPS3_21rocsparse_index_base_SB_SB_b
		.amdhsa_group_segment_fixed_size 8448
		.amdhsa_private_segment_fixed_size 0
		.amdhsa_kernarg_size 120
		.amdhsa_user_sgpr_count 2
		.amdhsa_user_sgpr_dispatch_ptr 0
		.amdhsa_user_sgpr_queue_ptr 0
		.amdhsa_user_sgpr_kernarg_segment_ptr 1
		.amdhsa_user_sgpr_dispatch_id 0
		.amdhsa_user_sgpr_private_segment_size 0
		.amdhsa_wavefront_size32 1
		.amdhsa_uses_dynamic_stack 0
		.amdhsa_enable_private_segment 0
		.amdhsa_system_sgpr_workgroup_id_x 1
		.amdhsa_system_sgpr_workgroup_id_y 0
		.amdhsa_system_sgpr_workgroup_id_z 0
		.amdhsa_system_sgpr_workgroup_info 0
		.amdhsa_system_vgpr_workitem_id 0
		.amdhsa_next_free_vgpr 48
		.amdhsa_next_free_sgpr 27
		.amdhsa_reserve_vcc 1
		.amdhsa_float_round_mode_32 0
		.amdhsa_float_round_mode_16_64 0
		.amdhsa_float_denorm_mode_32 3
		.amdhsa_float_denorm_mode_16_64 3
		.amdhsa_fp16_overflow 0
		.amdhsa_workgroup_processor_mode 1
		.amdhsa_memory_ordered 1
		.amdhsa_forward_progress 1
		.amdhsa_inst_pref_size 17
		.amdhsa_round_robin_scheduling 0
		.amdhsa_exception_fp_ieee_invalid_op 0
		.amdhsa_exception_fp_denorm_src 0
		.amdhsa_exception_fp_ieee_div_zero 0
		.amdhsa_exception_fp_ieee_overflow 0
		.amdhsa_exception_fp_ieee_underflow 0
		.amdhsa_exception_fp_ieee_inexact 0
		.amdhsa_exception_int_div_zero 0
	.end_amdhsa_kernel
	.section	.text._ZN9rocsparseL39bsrgeam_wf_per_row_multipass_2_3_kernelILj256ELj2ELj64EdEEv20rocsparse_direction_iiiNS_24const_host_device_scalarIT2_EEPKiS6_PKS3_S4_S6_S6_S8_S6_PiPS3_21rocsparse_index_base_SB_SB_b,"axG",@progbits,_ZN9rocsparseL39bsrgeam_wf_per_row_multipass_2_3_kernelILj256ELj2ELj64EdEEv20rocsparse_direction_iiiNS_24const_host_device_scalarIT2_EEPKiS6_PKS3_S4_S6_S6_S8_S6_PiPS3_21rocsparse_index_base_SB_SB_b,comdat
.Lfunc_end9:
	.size	_ZN9rocsparseL39bsrgeam_wf_per_row_multipass_2_3_kernelILj256ELj2ELj64EdEEv20rocsparse_direction_iiiNS_24const_host_device_scalarIT2_EEPKiS6_PKS3_S4_S6_S6_S8_S6_PiPS3_21rocsparse_index_base_SB_SB_b, .Lfunc_end9-_ZN9rocsparseL39bsrgeam_wf_per_row_multipass_2_3_kernelILj256ELj2ELj64EdEEv20rocsparse_direction_iiiNS_24const_host_device_scalarIT2_EEPKiS6_PKS3_S4_S6_S6_S8_S6_PiPS3_21rocsparse_index_base_SB_SB_b
                                        ; -- End function
	.set _ZN9rocsparseL39bsrgeam_wf_per_row_multipass_2_3_kernelILj256ELj2ELj64EdEEv20rocsparse_direction_iiiNS_24const_host_device_scalarIT2_EEPKiS6_PKS3_S4_S6_S6_S8_S6_PiPS3_21rocsparse_index_base_SB_SB_b.num_vgpr, 48
	.set _ZN9rocsparseL39bsrgeam_wf_per_row_multipass_2_3_kernelILj256ELj2ELj64EdEEv20rocsparse_direction_iiiNS_24const_host_device_scalarIT2_EEPKiS6_PKS3_S4_S6_S6_S8_S6_PiPS3_21rocsparse_index_base_SB_SB_b.num_agpr, 0
	.set _ZN9rocsparseL39bsrgeam_wf_per_row_multipass_2_3_kernelILj256ELj2ELj64EdEEv20rocsparse_direction_iiiNS_24const_host_device_scalarIT2_EEPKiS6_PKS3_S4_S6_S6_S8_S6_PiPS3_21rocsparse_index_base_SB_SB_b.numbered_sgpr, 27
	.set _ZN9rocsparseL39bsrgeam_wf_per_row_multipass_2_3_kernelILj256ELj2ELj64EdEEv20rocsparse_direction_iiiNS_24const_host_device_scalarIT2_EEPKiS6_PKS3_S4_S6_S6_S8_S6_PiPS3_21rocsparse_index_base_SB_SB_b.num_named_barrier, 0
	.set _ZN9rocsparseL39bsrgeam_wf_per_row_multipass_2_3_kernelILj256ELj2ELj64EdEEv20rocsparse_direction_iiiNS_24const_host_device_scalarIT2_EEPKiS6_PKS3_S4_S6_S6_S8_S6_PiPS3_21rocsparse_index_base_SB_SB_b.private_seg_size, 0
	.set _ZN9rocsparseL39bsrgeam_wf_per_row_multipass_2_3_kernelILj256ELj2ELj64EdEEv20rocsparse_direction_iiiNS_24const_host_device_scalarIT2_EEPKiS6_PKS3_S4_S6_S6_S8_S6_PiPS3_21rocsparse_index_base_SB_SB_b.uses_vcc, 1
	.set _ZN9rocsparseL39bsrgeam_wf_per_row_multipass_2_3_kernelILj256ELj2ELj64EdEEv20rocsparse_direction_iiiNS_24const_host_device_scalarIT2_EEPKiS6_PKS3_S4_S6_S6_S8_S6_PiPS3_21rocsparse_index_base_SB_SB_b.uses_flat_scratch, 0
	.set _ZN9rocsparseL39bsrgeam_wf_per_row_multipass_2_3_kernelILj256ELj2ELj64EdEEv20rocsparse_direction_iiiNS_24const_host_device_scalarIT2_EEPKiS6_PKS3_S4_S6_S6_S8_S6_PiPS3_21rocsparse_index_base_SB_SB_b.has_dyn_sized_stack, 0
	.set _ZN9rocsparseL39bsrgeam_wf_per_row_multipass_2_3_kernelILj256ELj2ELj64EdEEv20rocsparse_direction_iiiNS_24const_host_device_scalarIT2_EEPKiS6_PKS3_S4_S6_S6_S8_S6_PiPS3_21rocsparse_index_base_SB_SB_b.has_recursion, 0
	.set _ZN9rocsparseL39bsrgeam_wf_per_row_multipass_2_3_kernelILj256ELj2ELj64EdEEv20rocsparse_direction_iiiNS_24const_host_device_scalarIT2_EEPKiS6_PKS3_S4_S6_S6_S8_S6_PiPS3_21rocsparse_index_base_SB_SB_b.has_indirect_call, 0
	.section	.AMDGPU.csdata,"",@progbits
; Kernel info:
; codeLenInByte = 2164
; TotalNumSgprs: 29
; NumVgprs: 48
; ScratchSize: 0
; MemoryBound: 0
; FloatMode: 240
; IeeeMode: 1
; LDSByteSize: 8448 bytes/workgroup (compile time only)
; SGPRBlocks: 0
; VGPRBlocks: 5
; NumSGPRsForWavesPerEU: 29
; NumVGPRsForWavesPerEU: 48
; Occupancy: 16
; WaveLimiterHint : 1
; COMPUTE_PGM_RSRC2:SCRATCH_EN: 0
; COMPUTE_PGM_RSRC2:USER_SGPR: 2
; COMPUTE_PGM_RSRC2:TRAP_HANDLER: 0
; COMPUTE_PGM_RSRC2:TGID_X_EN: 1
; COMPUTE_PGM_RSRC2:TGID_Y_EN: 0
; COMPUTE_PGM_RSRC2:TGID_Z_EN: 0
; COMPUTE_PGM_RSRC2:TIDIG_COMP_CNT: 0
	.section	.text._ZN9rocsparseL39bsrgeam_wf_per_row_multipass_2_3_kernelILj256ELj3ELj32EdEEv20rocsparse_direction_iiiNS_24const_host_device_scalarIT2_EEPKiS6_PKS3_S4_S6_S6_S8_S6_PiPS3_21rocsparse_index_base_SB_SB_b,"axG",@progbits,_ZN9rocsparseL39bsrgeam_wf_per_row_multipass_2_3_kernelILj256ELj3ELj32EdEEv20rocsparse_direction_iiiNS_24const_host_device_scalarIT2_EEPKiS6_PKS3_S4_S6_S6_S8_S6_PiPS3_21rocsparse_index_base_SB_SB_b,comdat
	.globl	_ZN9rocsparseL39bsrgeam_wf_per_row_multipass_2_3_kernelILj256ELj3ELj32EdEEv20rocsparse_direction_iiiNS_24const_host_device_scalarIT2_EEPKiS6_PKS3_S4_S6_S6_S8_S6_PiPS3_21rocsparse_index_base_SB_SB_b ; -- Begin function _ZN9rocsparseL39bsrgeam_wf_per_row_multipass_2_3_kernelILj256ELj3ELj32EdEEv20rocsparse_direction_iiiNS_24const_host_device_scalarIT2_EEPKiS6_PKS3_S4_S6_S6_S8_S6_PiPS3_21rocsparse_index_base_SB_SB_b
	.p2align	8
	.type	_ZN9rocsparseL39bsrgeam_wf_per_row_multipass_2_3_kernelILj256ELj3ELj32EdEEv20rocsparse_direction_iiiNS_24const_host_device_scalarIT2_EEPKiS6_PKS3_S4_S6_S6_S8_S6_PiPS3_21rocsparse_index_base_SB_SB_b,@function
_ZN9rocsparseL39bsrgeam_wf_per_row_multipass_2_3_kernelILj256ELj3ELj32EdEEv20rocsparse_direction_iiiNS_24const_host_device_scalarIT2_EEPKiS6_PKS3_S4_S6_S6_S8_S6_PiPS3_21rocsparse_index_base_SB_SB_b: ; @_ZN9rocsparseL39bsrgeam_wf_per_row_multipass_2_3_kernelILj256ELj3ELj32EdEEv20rocsparse_direction_iiiNS_24const_host_device_scalarIT2_EEPKiS6_PKS3_S4_S6_S6_S8_S6_PiPS3_21rocsparse_index_base_SB_SB_b
; %bb.0:
	s_clause 0x2
	s_load_b128 s[4:7], s[0:1], 0x68
	s_load_b64 s[8:9], s[0:1], 0x10
	s_load_b64 s[2:3], s[0:1], 0x30
	s_wait_kmcnt 0x0
	s_bitcmp1_b32 s7, 0
	v_dual_mov_b32 v4, s8 :: v_dual_mov_b32 v5, s9
	s_cselect_b32 s7, -1, 0
	s_delay_alu instid0(SALU_CYCLE_1)
	s_and_b32 vcc_lo, exec_lo, s7
	s_xor_b32 s7, s7, -1
	s_cbranch_vccnz .LBB10_2
; %bb.1:
	v_dual_mov_b32 v1, s8 :: v_dual_mov_b32 v2, s9
	flat_load_b64 v[4:5], v[1:2]
.LBB10_2:
	v_dual_mov_b32 v7, s3 :: v_dual_mov_b32 v6, s2
	s_and_not1_b32 vcc_lo, exec_lo, s7
	s_cbranch_vccnz .LBB10_4
; %bb.3:
	v_dual_mov_b32 v1, s2 :: v_dual_mov_b32 v2, s3
	flat_load_b64 v[6:7], v[1:2]
.LBB10_4:
	s_load_b96 s[20:22], s[0:1], 0x0
	v_lshrrev_b32_e32 v12, 5, v0
	s_lshl_b32 s2, ttmp9, 3
	s_wait_alu 0xfffe
	s_delay_alu instid0(VALU_DEP_1) | instskip(SKIP_2) | instid1(VALU_DEP_1)
	v_and_or_b32 v1, 0x7fffff8, s2, v12
	s_mov_b32 s2, exec_lo
	s_wait_kmcnt 0x0
	v_cmpx_gt_i32_e64 s21, v1
	s_cbranch_execz .LBB10_39
; %bb.5:
	s_clause 0x2
	s_load_b128 s[8:11], s[0:1], 0x18
	s_load_b128 s[12:15], s[0:1], 0x38
	s_load_b64 s[2:3], s[0:1], 0x50
	v_lshlrev_b32_e32 v1, 2, v1
	s_wait_kmcnt 0x0
	s_clause 0x2
	global_load_b64 v[2:3], v1, s[8:9]
	global_load_b64 v[8:9], v1, s[12:13]
	global_load_b32 v13, v1, s[2:3]
	s_wait_loadcnt 0x2
	v_subrev_nc_u32_e32 v1, s4, v2
	v_cmp_lt_i32_e32 vcc_lo, v2, v3
	v_mov_b32_e32 v2, s22
	s_and_saveexec_b32 s2, vcc_lo
	s_cbranch_execz .LBB10_7
; %bb.6:
	v_ashrrev_i32_e32 v2, 31, v1
	s_delay_alu instid0(VALU_DEP_1) | instskip(NEXT) | instid1(VALU_DEP_1)
	v_lshlrev_b64_e32 v[10:11], 2, v[1:2]
	v_add_co_u32 v10, vcc_lo, s10, v10
	s_delay_alu instid0(VALU_DEP_1)
	v_add_co_ci_u32_e64 v11, null, s11, v11, vcc_lo
	global_load_b32 v2, v[10:11], off
	s_wait_loadcnt 0x0
	v_subrev_nc_u32_e32 v2, s4, v2
.LBB10_7:
	s_wait_alu 0xfffe
	s_or_b32 exec_lo, exec_lo, s2
	s_clause 0x2
	s_load_b128 s[16:19], s[0:1], 0x58
	s_load_b64 s[2:3], s[0:1], 0x28
	s_load_b64 s[8:9], s[0:1], 0x48
	s_wait_loadcnt 0x1
	v_subrev_nc_u32_e32 v10, s5, v8
	v_cmp_lt_i32_e32 vcc_lo, v8, v9
	v_mov_b32_e32 v8, s22
	s_and_saveexec_b32 s0, vcc_lo
	s_cbranch_execz .LBB10_9
; %bb.8:
	v_ashrrev_i32_e32 v11, 31, v10
	s_delay_alu instid0(VALU_DEP_1) | instskip(NEXT) | instid1(VALU_DEP_1)
	v_lshlrev_b64_e32 v[14:15], 2, v[10:11]
	v_add_co_u32 v14, vcc_lo, s14, v14
	s_wait_alu 0xfffd
	s_delay_alu instid0(VALU_DEP_2)
	v_add_co_ci_u32_e64 v15, null, s15, v15, vcc_lo
	global_load_b32 v8, v[14:15], off
	s_wait_loadcnt 0x0
	v_subrev_nc_u32_e32 v8, s5, v8
.LBB10_9:
	s_or_b32 exec_lo, exec_lo, s0
	v_and_b32_e32 v11, 31, v0
	s_movk_i32 s0, 0xe0
	s_delay_alu instid0(VALU_DEP_2)
	v_min_i32_e32 v47, v8, v2
	v_and_or_b32 v31, v0, s0, 0x4800
	v_subrev_nc_u32_e32 v33, s4, v3
	v_mul_u32_u24_e32 v0, 0x48, v11
	v_subrev_nc_u32_e32 v34, s5, v9
	v_mul_u32_u24_e32 v32, 0x900, v12
	s_mov_b32 s12, 0
	s_wait_loadcnt 0x0
	v_subrev_nc_u32_e32 v35, s6, v13
	v_mad_u32_u24 v36, 0x900, v12, v0
	v_mbcnt_lo_u32_b32 v0, -1, 0
	s_mov_b32 s13, s12
	s_mov_b32 s24, s12
	;; [unrolled: 1-line block ×3, first 2 shown]
	s_cmp_lg_u32 s20, 0
	v_xor_b32_e32 v2, 16, v0
	v_xor_b32_e32 v3, 4, v0
	;; [unrolled: 1-line block ×4, first 2 shown]
	s_cselect_b32 s1, -1, 0
	v_cmp_gt_i32_e32 vcc_lo, 32, v2
	s_cmp_eq_u32 s20, 0
	v_mov_b32_e32 v15, s24
	s_cselect_b32 s7, 16, 48
	s_cselect_b32 s20, 24, 8
	s_wait_alu 0xfffd
	v_cndmask_b32_e32 v2, v0, v2, vcc_lo
	v_add_nc_u32_e32 v8, v1, v11
	v_xor_b32_e32 v1, 31, v11
	v_add_nc_u32_e32 v38, s6, v11
	s_cselect_b32 s6, 8, 24
	v_lshlrev_b32_e32 v39, 2, v2
	s_cselect_b32 s21, 48, 16
	v_lshrrev_b32_e64 v37, v1, -1
	v_xor_b32_e32 v1, 8, v0
	s_cselect_b32 s23, 56, 40
	v_dual_mov_b32 v16, s25 :: v_dual_mov_b32 v45, 1
	v_mov_b32_e32 v14, s13
	s_delay_alu instid0(VALU_DEP_3)
	v_cmp_gt_i32_e32 vcc_lo, 32, v1
	v_mov_b32_e32 v13, s12
	s_cselect_b32 s13, 40, 56
	s_wait_alu 0xfffd
	v_cndmask_b32_e32 v1, v0, v1, vcc_lo
	v_cmp_gt_i32_e32 vcc_lo, 32, v3
	s_wait_alu 0xfffd
	s_delay_alu instid0(VALU_DEP_2) | instskip(SKIP_2) | instid1(VALU_DEP_3)
	v_dual_cndmask_b32 v3, v0, v3 :: v_dual_lshlrev_b32 v40, 2, v1
	v_cmp_gt_i32_e32 vcc_lo, 32, v9
	v_add_nc_u32_e32 v10, v10, v11
	v_lshlrev_b32_e32 v41, 2, v3
	s_wait_alu 0xfffd
	v_cndmask_b32_e32 v9, v0, v9, vcc_lo
	v_cmp_gt_i32_e32 vcc_lo, 32, v12
	s_delay_alu instid0(VALU_DEP_2) | instskip(SKIP_4) | instid1(VALU_DEP_3)
	v_lshlrev_b32_e32 v42, 2, v9
	s_wait_alu 0xfffd
	v_cndmask_b32_e32 v0, v0, v12, vcc_lo
	v_mov_b32_e32 v12, 0
	v_add_nc_u32_e32 v44, v31, v11
	v_lshlrev_b32_e32 v43, 2, v0
	s_delay_alu instid0(VALU_DEP_3)
	v_dual_mov_b32 v17, v12 :: v_dual_mov_b32 v18, v12
	s_branch .LBB10_11
.LBB10_10:                              ;   in Loop: Header=BB10_11 Depth=1
	s_wait_alu 0xfffe
	s_or_b32 exec_lo, exec_lo, s24
	ds_bpermute_b32 v0, v39, v46
	s_bcnt1_i32_b32 s24, vcc_lo
	s_wait_alu 0xfffe
	v_add_nc_u32_e32 v35, s24, v35
	s_wait_dscnt 0x0
	v_min_i32_e32 v0, v0, v46
	ds_bpermute_b32 v1, v40, v0
	s_wait_dscnt 0x0
	v_min_i32_e32 v0, v1, v0
	ds_bpermute_b32 v1, v41, v0
	;; [unrolled: 3-line block ×4, first 2 shown]
	s_wait_dscnt 0x0
	v_min_i32_e32 v47, v1, v0
	s_delay_alu instid0(VALU_DEP_1)
	v_cmp_le_i32_e64 s0, s22, v47
	s_or_b32 s12, s0, s12
	s_wait_alu 0xfffe
	s_and_not1_b32 exec_lo, exec_lo, s12
	s_cbranch_execz .LBB10_39
.LBB10_11:                              ; =>This Loop Header: Depth=1
                                        ;     Child Loop BB10_14 Depth 2
                                        ;     Child Loop BB10_27 Depth 2
	v_mov_b32_e32 v46, s22
	s_mov_b32 s24, exec_lo
	ds_store_2addr_b64 v36, v[13:14], v[15:16] offset1:1
	ds_store_2addr_b64 v36, v[13:14], v[15:16] offset0:2 offset1:3
	ds_store_2addr_b64 v36, v[13:14], v[15:16] offset0:4 offset1:5
	;; [unrolled: 1-line block ×3, first 2 shown]
	ds_store_b8 v44, v12
	ds_store_b64 v36, v[17:18] offset:64
	s_wait_dscnt 0x0
	global_inv scope:SCOPE_SE
	v_cmpx_lt_i32_e64 v8, v33
	s_cbranch_execz .LBB10_24
; %bb.12:                               ;   in Loop: Header=BB10_11 Depth=1
	v_mad_co_u64_u32 v[0:1], null, v8, 9, 8
	v_mov_b32_e32 v46, s22
	s_mov_b32 s25, 0
	s_branch .LBB10_14
.LBB10_13:                              ;   in Loop: Header=BB10_14 Depth=2
	s_or_b32 exec_lo, exec_lo, s27
	s_delay_alu instid0(SALU_CYCLE_1)
	s_and_b32 s0, exec_lo, s26
	s_wait_alu 0xfffe
	s_or_b32 s25, s0, s25
	s_wait_alu 0xfffe
	s_and_not1_b32 exec_lo, exec_lo, s25
	s_cbranch_execz .LBB10_23
.LBB10_14:                              ;   Parent Loop BB10_11 Depth=1
                                        ; =>  This Inner Loop Header: Depth=2
	v_ashrrev_i32_e32 v9, 31, v8
	s_mov_b32 s26, exec_lo
	s_delay_alu instid0(VALU_DEP_1) | instskip(NEXT) | instid1(VALU_DEP_1)
	v_lshlrev_b64_e32 v[1:2], 2, v[8:9]
	v_add_co_u32 v1, vcc_lo, s10, v1
	s_wait_alu 0xfffd
	s_delay_alu instid0(VALU_DEP_2) | instskip(SKIP_3) | instid1(VALU_DEP_1)
	v_add_co_ci_u32_e64 v2, null, s11, v2, vcc_lo
	global_load_b32 v1, v[1:2], off
	s_wait_loadcnt 0x0
	v_subrev_nc_u32_e32 v2, s4, v1
	v_sub_nc_u32_e32 v1, v2, v47
	s_delay_alu instid0(VALU_DEP_1)
	v_cmp_gt_u32_e64 s0, 32, v1
	v_cmpx_lt_u32_e32 31, v1
	s_xor_b32 s26, exec_lo, s26
; %bb.15:                               ;   in Loop: Header=BB10_14 Depth=2
	v_min_i32_e32 v46, v2, v46
                                        ; implicit-def: $vgpr1
; %bb.16:                               ;   in Loop: Header=BB10_14 Depth=2
	s_and_not1_saveexec_b32 s26, s26
	s_cbranch_execz .LBB10_21
; %bb.17:                               ;   in Loop: Header=BB10_14 Depth=2
	v_add_nc_u32_e32 v11, -8, v0
	v_mul_lo_u32 v9, 0x48, v1
	v_add_nc_u32_e32 v1, v31, v1
	v_add_nc_u32_e32 v21, -2, v0
	v_add_nc_u32_e32 v27, -7, v0
	v_lshlrev_b64_e32 v[2:3], 3, v[11:12]
	v_add_nc_u32_e32 v11, -4, v0
	v_add_nc_u32_e32 v19, -1, v0
	;; [unrolled: 1-line block ×3, first 2 shown]
	v_add_nc_u32_e32 v9, v32, v9
	v_add_nc_u32_e32 v23, -3, v0
	s_wait_kmcnt 0x0
	v_add_co_u32 v2, vcc_lo, s2, v2
	s_wait_alu 0xfffd
	v_add_co_ci_u32_e64 v3, null, s3, v3, vcc_lo
	s_mov_b32 s27, -1
	global_load_b64 v[2:3], v[2:3], off
	s_wait_loadcnt 0x0
	v_mul_f64_e32 v[28:29], v[4:5], v[2:3]
	v_lshlrev_b64_e32 v[2:3], 3, v[11:12]
	v_add_nc_u32_e32 v11, -5, v0
	ds_store_b8 v1, v45
	ds_store_b64 v9, v[28:29]
	v_add_co_u32 v2, vcc_lo, s2, v2
	s_wait_alu 0xfffd
	v_add_co_ci_u32_e64 v3, null, s3, v3, vcc_lo
	s_wait_alu 0xfffe
	s_and_not1_b32 vcc_lo, exec_lo, s1
	s_wait_alu 0xfffe
	s_cbranch_vccnz .LBB10_19
; %bb.18:                               ;   in Loop: Header=BB10_14 Depth=2
	v_dual_mov_b32 v22, v12 :: v_dual_mov_b32 v1, v12
	v_mov_b32_e32 v28, v12
	v_lshlrev_b64_e32 v[29:30], 3, v[11:12]
	v_mov_b32_e32 v20, v12
	s_delay_alu instid0(VALU_DEP_4)
	v_lshlrev_b64_e32 v[48:49], 3, v[21:22]
	v_mov_b32_e32 v26, v12
	v_lshlrev_b64_e32 v[50:51], 3, v[27:28]
	v_mov_b32_e32 v24, v12
	v_add_co_u32 v28, vcc_lo, s2, v29
	v_lshlrev_b64_e32 v[52:53], 3, v[19:20]
	s_wait_alu 0xfffd
	v_add_co_ci_u32_e64 v29, null, s3, v30, vcc_lo
	v_add_co_u32 v48, vcc_lo, s2, v48
	v_lshlrev_b64_e32 v[54:55], 3, v[25:26]
	s_wait_alu 0xfffd
	v_add_co_ci_u32_e64 v49, null, s3, v49, vcc_lo
	;; [unrolled: 4-line block ×4, first 2 shown]
	v_add_co_u32 v54, vcc_lo, s2, v54
	s_wait_alu 0xfffd
	v_add_co_ci_u32_e64 v55, null, s3, v55, vcc_lo
	v_add_co_u32 v56, vcc_lo, s2, v56
	s_wait_alu 0xfffd
	v_add_co_ci_u32_e64 v57, null, s3, v57, vcc_lo
	v_add_co_u32 v58, vcc_lo, s2, v58
	s_wait_alu 0xfffd
	v_add_co_ci_u32_e64 v59, null, s3, v59, vcc_lo
	s_clause 0x7
	global_load_b64 v[28:29], v[28:29], off
	global_load_b64 v[48:49], v[48:49], off
	;; [unrolled: 1-line block ×8, first 2 shown]
	s_mov_b32 s27, 0
	s_wait_loadcnt 0x7
	v_mul_f64_e32 v[28:29], v[4:5], v[28:29]
	s_wait_loadcnt 0x6
	v_mul_f64_e32 v[48:49], v[4:5], v[48:49]
	;; [unrolled: 2-line block ×8, first 2 shown]
	ds_store_2addr_b64 v9, v[28:29], v[48:49] offset0:1 offset1:2
	ds_store_2addr_b64 v9, v[50:51], v[60:61] offset0:3 offset1:4
	;; [unrolled: 1-line block ×4, first 2 shown]
.LBB10_19:                              ;   in Loop: Header=BB10_14 Depth=2
	s_and_not1_b32 vcc_lo, exec_lo, s27
	s_wait_alu 0xfffe
	s_cbranch_vccnz .LBB10_21
; %bb.20:                               ;   in Loop: Header=BB10_14 Depth=2
	v_dual_mov_b32 v28, v12 :: v_dual_mov_b32 v1, v12
	v_mov_b32_e32 v26, v12
	v_mov_b32_e32 v24, v12
	;; [unrolled: 1-line block ×3, first 2 shown]
	s_delay_alu instid0(VALU_DEP_4)
	v_lshlrev_b64_e32 v[27:28], 3, v[27:28]
	v_lshlrev_b64_e32 v[29:30], 3, v[11:12]
	;; [unrolled: 1-line block ×3, first 2 shown]
	v_mov_b32_e32 v20, v12
	v_lshlrev_b64_e32 v[23:24], 3, v[23:24]
	v_lshlrev_b64_e32 v[21:22], 3, v[21:22]
	v_add_co_u32 v27, vcc_lo, s2, v27
	s_wait_alu 0xfffd
	v_add_co_ci_u32_e64 v28, null, s3, v28, vcc_lo
	v_add_co_u32 v25, vcc_lo, s2, v25
	s_wait_alu 0xfffd
	v_add_co_ci_u32_e64 v26, null, s3, v26, vcc_lo
	v_add_co_u32 v29, vcc_lo, s2, v29
	v_lshlrev_b64_e32 v[19:20], 3, v[19:20]
	s_wait_alu 0xfffd
	v_add_co_ci_u32_e64 v30, null, s3, v30, vcc_lo
	v_add_co_u32 v23, vcc_lo, s2, v23
	v_lshlrev_b64_e32 v[48:49], 3, v[0:1]
	s_wait_alu 0xfffd
	v_add_co_ci_u32_e64 v24, null, s3, v24, vcc_lo
	v_add_co_u32 v21, vcc_lo, s2, v21
	s_wait_alu 0xfffd
	v_add_co_ci_u32_e64 v22, null, s3, v22, vcc_lo
	v_add_co_u32 v19, vcc_lo, s2, v19
	;; [unrolled: 3-line block ×3, first 2 shown]
	s_wait_alu 0xfffd
	v_add_co_ci_u32_e64 v49, null, s3, v49, vcc_lo
	s_clause 0x7
	global_load_b64 v[27:28], v[27:28], off
	global_load_b64 v[25:26], v[25:26], off
	;; [unrolled: 1-line block ×8, first 2 shown]
	s_wait_loadcnt 0x7
	v_mul_f64_e32 v[27:28], v[4:5], v[27:28]
	s_wait_loadcnt 0x6
	v_mul_f64_e32 v[25:26], v[4:5], v[25:26]
	;; [unrolled: 2-line block ×8, first 2 shown]
	ds_store_2addr_b64 v9, v[27:28], v[25:26] offset0:1 offset1:2
	ds_store_2addr_b64 v9, v[29:30], v[1:2] offset0:3 offset1:4
	;; [unrolled: 1-line block ×4, first 2 shown]
.LBB10_21:                              ;   in Loop: Header=BB10_14 Depth=2
	s_or_b32 exec_lo, exec_lo, s26
	s_mov_b32 s26, -1
	s_and_saveexec_b32 s27, s0
	s_cbranch_execz .LBB10_13
; %bb.22:                               ;   in Loop: Header=BB10_14 Depth=2
	v_add_nc_u32_e32 v8, 32, v8
	v_add_nc_u32_e32 v0, 0x120, v0
	s_delay_alu instid0(VALU_DEP_2)
	v_cmp_ge_i32_e32 vcc_lo, v8, v33
	s_or_not1_b32 s26, vcc_lo, exec_lo
	s_branch .LBB10_13
.LBB10_23:                              ;   in Loop: Header=BB10_11 Depth=1
	s_or_b32 exec_lo, exec_lo, s25
.LBB10_24:                              ;   in Loop: Header=BB10_11 Depth=1
	s_wait_alu 0xfffe
	s_or_b32 exec_lo, exec_lo, s24
	s_delay_alu instid0(SALU_CYCLE_1)
	s_mov_b32 s24, exec_lo
	s_wait_loadcnt_dscnt 0x0
	global_inv scope:SCOPE_SE
	v_cmpx_lt_i32_e64 v10, v34
	s_cbranch_execz .LBB10_37
; %bb.25:                               ;   in Loop: Header=BB10_11 Depth=1
	v_mad_co_u64_u32 v[19:20], null, v10, 9, 8
	s_mov_b32 s25, 0
	s_branch .LBB10_27
.LBB10_26:                              ;   in Loop: Header=BB10_27 Depth=2
	s_or_b32 exec_lo, exec_lo, s27
	s_delay_alu instid0(SALU_CYCLE_1)
	s_and_b32 s0, exec_lo, s26
	s_wait_alu 0xfffe
	s_or_b32 s25, s0, s25
	s_wait_alu 0xfffe
	s_and_not1_b32 exec_lo, exec_lo, s25
	s_cbranch_execz .LBB10_36
.LBB10_27:                              ;   Parent Loop BB10_11 Depth=1
                                        ; =>  This Inner Loop Header: Depth=2
	v_ashrrev_i32_e32 v11, 31, v10
	s_mov_b32 s26, exec_lo
	s_delay_alu instid0(VALU_DEP_1) | instskip(NEXT) | instid1(VALU_DEP_1)
	v_lshlrev_b64_e32 v[0:1], 2, v[10:11]
	v_add_co_u32 v0, vcc_lo, s14, v0
	s_wait_alu 0xfffd
	s_delay_alu instid0(VALU_DEP_2) | instskip(SKIP_3) | instid1(VALU_DEP_1)
	v_add_co_ci_u32_e64 v1, null, s15, v1, vcc_lo
	global_load_b32 v0, v[0:1], off
	s_wait_loadcnt 0x0
	v_subrev_nc_u32_e32 v0, s5, v0
	v_sub_nc_u32_e32 v20, v0, v47
	s_delay_alu instid0(VALU_DEP_1)
	v_cmp_gt_u32_e64 s0, 32, v20
	v_cmpx_lt_u32_e32 31, v20
	s_xor_b32 s26, exec_lo, s26
; %bb.28:                               ;   in Loop: Header=BB10_27 Depth=2
	v_min_i32_e32 v46, v0, v46
                                        ; implicit-def: $vgpr20
; %bb.29:                               ;   in Loop: Header=BB10_27 Depth=2
	s_and_not1_saveexec_b32 s26, s26
	s_cbranch_execz .LBB10_34
; %bb.30:                               ;   in Loop: Header=BB10_27 Depth=2
	v_add_nc_u32_e32 v11, -8, v19
	v_add_nc_u32_e32 v23, -2, v19
	;; [unrolled: 1-line block ×5, first 2 shown]
	v_lshlrev_b64_e32 v[0:1], 3, v[11:12]
	v_add_nc_u32_e32 v11, -4, v19
	s_mov_b32 s27, -1
	s_wait_kmcnt 0x0
	s_delay_alu instid0(VALU_DEP_2)
	v_add_co_u32 v0, vcc_lo, s8, v0
	s_wait_alu 0xfffd
	v_add_co_ci_u32_e64 v1, null, s9, v1, vcc_lo
	global_load_b64 v[21:22], v[0:1], off
	v_mul_lo_u32 v0, 0x48, v20
	v_add_nc_u32_e32 v20, v31, v20
	s_delay_alu instid0(VALU_DEP_2)
	v_add_nc_u32_e32 v9, v32, v0
	ds_load_2addr_b64 v[0:3], v9 offset1:1
	s_wait_loadcnt_dscnt 0x0
	v_fma_f64 v[48:49], v[6:7], v[21:22], v[0:1]
	v_lshlrev_b64_e32 v[0:1], 3, v[11:12]
	v_add_nc_u32_e32 v11, -5, v19
	ds_store_b8 v20, v45
	ds_store_b64 v9, v[48:49]
	v_add_co_u32 v21, vcc_lo, s8, v0
	s_wait_alu 0xfffd
	v_add_co_ci_u32_e64 v22, null, s9, v1, vcc_lo
	v_add_nc_u32_e32 v0, -1, v19
	s_and_not1_b32 vcc_lo, exec_lo, s1
	s_wait_alu 0xfffe
	s_cbranch_vccnz .LBB10_32
; %bb.31:                               ;   in Loop: Header=BB10_27 Depth=2
	v_dual_mov_b32 v24, v12 :: v_dual_mov_b32 v1, v12
	v_mov_b32_e32 v30, v12
	v_lshlrev_b64_e32 v[48:49], 3, v[11:12]
	v_mov_b32_e32 v28, v12
	s_delay_alu instid0(VALU_DEP_4)
	v_lshlrev_b64_e32 v[50:51], 3, v[23:24]
	v_mov_b32_e32 v26, v12
	v_lshlrev_b64_e32 v[52:53], 3, v[29:30]
	v_lshlrev_b64_e32 v[54:55], 3, v[0:1]
	v_add_co_u32 v48, vcc_lo, s8, v48
	v_mov_b32_e32 v20, v12
	s_wait_alu 0xfffd
	v_add_co_ci_u32_e64 v49, null, s9, v49, vcc_lo
	v_add_co_u32 v50, vcc_lo, s8, v50
	v_lshlrev_b64_e32 v[56:57], 3, v[27:28]
	s_wait_alu 0xfffd
	v_add_co_ci_u32_e64 v51, null, s9, v51, vcc_lo
	v_add_co_u32 v52, vcc_lo, s8, v52
	v_lshlrev_b64_e32 v[58:59], 3, v[25:26]
	;; [unrolled: 4-line block ×3, first 2 shown]
	s_wait_alu 0xfffd
	v_add_co_ci_u32_e64 v55, null, s9, v55, vcc_lo
	v_add_co_u32 v56, vcc_lo, s8, v56
	s_wait_alu 0xfffd
	v_add_co_ci_u32_e64 v57, null, s9, v57, vcc_lo
	v_add_co_u32 v58, vcc_lo, s8, v58
	global_load_b64 v[60:61], v[21:22], off
	s_wait_alu 0xfffd
	v_add_co_ci_u32_e64 v59, null, s9, v59, vcc_lo
	v_add_co_u32 v62, vcc_lo, s8, v62
	s_wait_alu 0xfffd
	v_add_co_ci_u32_e64 v63, null, s9, v63, vcc_lo
	s_clause 0x6
	global_load_b64 v[64:65], v[48:49], off
	global_load_b64 v[66:67], v[50:51], off
	global_load_b64 v[68:69], v[52:53], off
	global_load_b64 v[70:71], v[54:55], off
	global_load_b64 v[72:73], v[56:57], off
	global_load_b64 v[74:75], v[58:59], off
	global_load_b64 v[62:63], v[62:63], off
	ds_load_2addr_b64 v[48:51], v9 offset0:4 offset1:5
	ds_load_2addr_b64 v[52:55], v9 offset0:2 offset1:3
	;; [unrolled: 1-line block ×3, first 2 shown]
	ds_load_b64 v[76:77], v9 offset:64
	s_mov_b32 s27, 0
	s_wait_loadcnt_dscnt 0x703
	v_fma_f64 v[48:49], v[6:7], v[60:61], v[48:49]
	s_wait_loadcnt 0x6
	v_fma_f64 v[60:61], v[6:7], v[64:65], v[2:3]
	s_wait_loadcnt_dscnt 0x502
	v_fma_f64 v[52:53], v[6:7], v[66:67], v[52:53]
	s_wait_loadcnt 0x4
	v_fma_f64 v[54:55], v[6:7], v[68:69], v[54:55]
	s_wait_loadcnt 0x3
	v_fma_f64 v[50:51], v[6:7], v[70:71], v[50:51]
	s_wait_loadcnt_dscnt 0x201
	v_fma_f64 v[56:57], v[6:7], v[72:73], v[56:57]
	s_wait_loadcnt 0x1
	v_fma_f64 v[58:59], v[6:7], v[74:75], v[58:59]
	s_wait_loadcnt_dscnt 0x0
	v_fma_f64 v[62:63], v[6:7], v[62:63], v[76:77]
	ds_store_2addr_b64 v9, v[60:61], v[52:53] offset0:1 offset1:2
	ds_store_2addr_b64 v9, v[54:55], v[48:49] offset0:3 offset1:4
	;; [unrolled: 1-line block ×4, first 2 shown]
.LBB10_32:                              ;   in Loop: Header=BB10_27 Depth=2
	s_and_not1_b32 vcc_lo, exec_lo, s27
	s_wait_alu 0xfffe
	s_cbranch_vccnz .LBB10_34
; %bb.33:                               ;   in Loop: Header=BB10_27 Depth=2
	v_dual_mov_b32 v30, v12 :: v_dual_mov_b32 v1, v12
	v_mov_b32_e32 v28, v12
	v_mov_b32_e32 v26, v12
	v_lshlrev_b64_e32 v[48:49], 3, v[11:12]
	s_delay_alu instid0(VALU_DEP_4)
	v_lshlrev_b64_e32 v[29:30], 3, v[29:30]
	v_mov_b32_e32 v24, v12
	v_lshlrev_b64_e32 v[27:28], 3, v[27:28]
	v_lshlrev_b64_e32 v[25:26], 3, v[25:26]
	v_mov_b32_e32 v20, v12
	global_load_b64 v[52:53], v[21:22], off
	v_add_co_u32 v29, vcc_lo, s8, v29
	s_wait_alu 0xfffd
	v_add_co_ci_u32_e64 v30, null, s9, v30, vcc_lo
	v_add_co_u32 v27, vcc_lo, s8, v27
	s_wait_alu 0xfffd
	v_add_co_ci_u32_e64 v28, null, s9, v28, vcc_lo
	v_add_co_u32 v48, vcc_lo, s8, v48
	v_lshlrev_b64_e32 v[21:22], 3, v[23:24]
	s_wait_alu 0xfffd
	v_add_co_ci_u32_e64 v49, null, s9, v49, vcc_lo
	v_add_co_u32 v23, vcc_lo, s8, v25
	v_lshlrev_b64_e32 v[0:1], 3, v[0:1]
	s_wait_alu 0xfffd
	v_add_co_ci_u32_e64 v24, null, s9, v26, vcc_lo
	v_lshlrev_b64_e32 v[25:26], 3, v[19:20]
	v_add_co_u32 v21, vcc_lo, s8, v21
	s_wait_alu 0xfffd
	v_add_co_ci_u32_e64 v22, null, s9, v22, vcc_lo
	v_add_co_u32 v0, vcc_lo, s8, v0
	s_wait_alu 0xfffd
	v_add_co_ci_u32_e64 v1, null, s9, v1, vcc_lo
	;; [unrolled: 3-line block ×3, first 2 shown]
	s_clause 0x6
	global_load_b64 v[29:30], v[29:30], off
	global_load_b64 v[54:55], v[27:28], off
	;; [unrolled: 1-line block ×7, first 2 shown]
	ds_load_2addr_b64 v[20:23], v9 offset0:4 offset1:5
	ds_load_2addr_b64 v[24:27], v9 offset0:2 offset1:3
	ds_load_2addr_b64 v[48:51], v9 offset0:6 offset1:7
	ds_load_b64 v[64:65], v9 offset:64
	s_wait_loadcnt_dscnt 0x703
	v_fma_f64 v[20:21], v[6:7], v[52:53], v[20:21]
	s_wait_loadcnt 0x6
	v_fma_f64 v[2:3], v[6:7], v[29:30], v[2:3]
	s_wait_loadcnt_dscnt 0x502
	v_fma_f64 v[24:25], v[6:7], v[54:55], v[24:25]
	s_wait_loadcnt 0x4
	v_fma_f64 v[26:27], v[6:7], v[56:57], v[26:27]
	s_wait_loadcnt 0x3
	v_fma_f64 v[22:23], v[6:7], v[58:59], v[22:23]
	s_wait_loadcnt_dscnt 0x201
	v_fma_f64 v[28:29], v[6:7], v[60:61], v[48:49]
	s_wait_loadcnt 0x1
	v_fma_f64 v[0:1], v[6:7], v[0:1], v[50:51]
	s_wait_loadcnt_dscnt 0x0
	v_fma_f64 v[48:49], v[6:7], v[62:63], v[64:65]
	ds_store_2addr_b64 v9, v[2:3], v[24:25] offset0:1 offset1:2
	ds_store_2addr_b64 v9, v[26:27], v[20:21] offset0:3 offset1:4
	;; [unrolled: 1-line block ×4, first 2 shown]
.LBB10_34:                              ;   in Loop: Header=BB10_27 Depth=2
	s_or_b32 exec_lo, exec_lo, s26
	s_mov_b32 s26, -1
	s_and_saveexec_b32 s27, s0
	s_cbranch_execz .LBB10_26
; %bb.35:                               ;   in Loop: Header=BB10_27 Depth=2
	v_add_nc_u32_e32 v10, 32, v10
	v_add_nc_u32_e32 v19, 0x120, v19
	s_delay_alu instid0(VALU_DEP_2)
	v_cmp_ge_i32_e32 vcc_lo, v10, v34
	s_or_not1_b32 s26, vcc_lo, exec_lo
	s_branch .LBB10_26
.LBB10_36:                              ;   in Loop: Header=BB10_11 Depth=1
	s_or_b32 exec_lo, exec_lo, s25
.LBB10_37:                              ;   in Loop: Header=BB10_11 Depth=1
	s_wait_alu 0xfffe
	s_or_b32 exec_lo, exec_lo, s24
	s_wait_loadcnt_dscnt 0x0
	global_inv scope:SCOPE_SE
	ds_load_u8 v0, v44
	s_mov_b32 s24, exec_lo
	s_wait_dscnt 0x0
	v_and_b32_e32 v1, 1, v0
	v_cmp_ne_u16_e32 vcc_lo, 0, v0
	s_delay_alu instid0(VALU_DEP_2)
	v_cmpx_eq_u32_e32 1, v1
	s_cbranch_execz .LBB10_10
; %bb.38:                               ;   in Loop: Header=BB10_11 Depth=1
	s_wait_alu 0xfffd
	v_dual_mov_b32 v21, v12 :: v_dual_and_b32 v0, vcc_lo, v37
	v_add_nc_u32_e32 v9, v38, v47
	v_add_nc_u32_e32 v30, s20, v36
	;; [unrolled: 1-line block ×3, first 2 shown]
	s_delay_alu instid0(VALU_DEP_4) | instskip(SKIP_3) | instid1(VALU_DEP_4)
	v_bcnt_u32_b32 v0, v0, 0
	v_add_nc_u32_e32 v61, s21, v36
	v_dual_mov_b32 v48, v12 :: v_dual_add_nc_u32 v63, s23, v36
	v_mov_b32_e32 v50, v12
	v_add3_u32 v19, v35, v0, -1
	ds_load_2addr_b64 v[0:3], v36 offset1:4
	v_mov_b32_e32 v52, v12
	v_ashrrev_i32_e32 v20, 31, v19
	v_lshl_add_u32 v11, v19, 3, v19
	v_mov_b32_e32 v23, v12
	v_mov_b32_e32 v25, v12
	s_delay_alu instid0(VALU_DEP_4) | instskip(NEXT) | instid1(VALU_DEP_4)
	v_lshlrev_b64_e32 v[26:27], 2, v[19:20]
	v_add_nc_u32_e32 v20, 1, v11
	v_add_nc_u32_e32 v22, 2, v11
	v_lshlrev_b64_e32 v[28:29], 3, v[11:12]
	v_add_nc_u32_e32 v24, 3, v11
	v_add_nc_u32_e32 v19, 4, v11
	s_wait_kmcnt 0x0
	v_add_co_u32 v26, s0, s16, v26
	v_lshlrev_b64_e32 v[20:21], 3, v[20:21]
	s_wait_alu 0xf1ff
	v_add_co_ci_u32_e64 v27, null, s17, v27, s0
	v_lshlrev_b64_e32 v[22:23], 3, v[22:23]
	v_lshlrev_b64_e32 v[24:25], 3, v[24:25]
	v_add_co_u32 v28, s0, s18, v28
	s_wait_alu 0xf1ff
	v_add_co_ci_u32_e64 v29, null, s19, v29, s0
	global_store_b32 v[26:27], v9, off
	v_add_co_u32 v26, s0, s18, v20
	s_wait_alu 0xf1ff
	v_add_co_ci_u32_e64 v27, null, s19, v21, s0
	v_add_co_u32 v21, s0, s18, v22
	s_wait_alu 0xf1ff
	v_add_co_ci_u32_e64 v22, null, s19, v23, s0
	v_add_co_u32 v23, s0, s18, v24
	v_add_nc_u32_e32 v9, s6, v36
	s_wait_alu 0xf1ff
	v_add_co_ci_u32_e64 v24, null, s19, v25, s0
	v_dual_mov_b32 v20, v12 :: v_dual_add_nc_u32 v25, s7, v36
	ds_load_b64 v[53:54], v9
	ds_load_b64 v[55:56], v25
	;; [unrolled: 1-line block ×6, first 2 shown]
	ds_load_b64 v[65:66], v36 offset:64
	v_add_nc_u32_e32 v47, 5, v11
	v_add_nc_u32_e32 v49, 6, v11
	v_lshlrev_b64_e32 v[19:20], 3, v[19:20]
	v_add_nc_u32_e32 v51, 7, v11
	v_add_nc_u32_e32 v11, 8, v11
	v_lshlrev_b64_e32 v[47:48], 3, v[47:48]
	v_lshlrev_b64_e32 v[49:50], 3, v[49:50]
	v_add_co_u32 v19, s0, s18, v19
	v_lshlrev_b64_e32 v[51:52], 3, v[51:52]
	s_wait_alu 0xf1ff
	v_add_co_ci_u32_e64 v20, null, s19, v20, s0
	v_add_co_u32 v47, s0, s18, v47
	v_lshlrev_b64_e32 v[67:68], 3, v[11:12]
	s_wait_alu 0xf1ff
	v_add_co_ci_u32_e64 v48, null, s19, v48, s0
	v_add_co_u32 v49, s0, s18, v49
	s_wait_alu 0xf1ff
	v_add_co_ci_u32_e64 v50, null, s19, v50, s0
	v_add_co_u32 v51, s0, s18, v51
	;; [unrolled: 3-line block ×3, first 2 shown]
	s_wait_alu 0xf1ff
	v_add_co_ci_u32_e64 v68, null, s19, v68, s0
	s_wait_dscnt 0x7
	global_store_b64 v[28:29], v[0:1], off
	s_wait_dscnt 0x6
	global_store_b64 v[26:27], v[53:54], off
	;; [unrolled: 2-line block ×3, first 2 shown]
	s_wait_dscnt 0x4
	s_clause 0x1
	global_store_b64 v[23:24], v[57:58], off
	global_store_b64 v[19:20], v[2:3], off
	s_wait_dscnt 0x3
	global_store_b64 v[47:48], v[59:60], off
	s_wait_dscnt 0x2
	;; [unrolled: 2-line block ×4, first 2 shown]
	global_store_b64 v[67:68], v[65:66], off
	s_branch .LBB10_10
.LBB10_39:
	s_endpgm
	.section	.rodata,"a",@progbits
	.p2align	6, 0x0
	.amdhsa_kernel _ZN9rocsparseL39bsrgeam_wf_per_row_multipass_2_3_kernelILj256ELj3ELj32EdEEv20rocsparse_direction_iiiNS_24const_host_device_scalarIT2_EEPKiS6_PKS3_S4_S6_S6_S8_S6_PiPS3_21rocsparse_index_base_SB_SB_b
		.amdhsa_group_segment_fixed_size 18688
		.amdhsa_private_segment_fixed_size 0
		.amdhsa_kernarg_size 120
		.amdhsa_user_sgpr_count 2
		.amdhsa_user_sgpr_dispatch_ptr 0
		.amdhsa_user_sgpr_queue_ptr 0
		.amdhsa_user_sgpr_kernarg_segment_ptr 1
		.amdhsa_user_sgpr_dispatch_id 0
		.amdhsa_user_sgpr_private_segment_size 0
		.amdhsa_wavefront_size32 1
		.amdhsa_uses_dynamic_stack 0
		.amdhsa_enable_private_segment 0
		.amdhsa_system_sgpr_workgroup_id_x 1
		.amdhsa_system_sgpr_workgroup_id_y 0
		.amdhsa_system_sgpr_workgroup_id_z 0
		.amdhsa_system_sgpr_workgroup_info 0
		.amdhsa_system_vgpr_workitem_id 0
		.amdhsa_next_free_vgpr 78
		.amdhsa_next_free_sgpr 28
		.amdhsa_reserve_vcc 1
		.amdhsa_float_round_mode_32 0
		.amdhsa_float_round_mode_16_64 0
		.amdhsa_float_denorm_mode_32 3
		.amdhsa_float_denorm_mode_16_64 3
		.amdhsa_fp16_overflow 0
		.amdhsa_workgroup_processor_mode 1
		.amdhsa_memory_ordered 1
		.amdhsa_forward_progress 1
		.amdhsa_inst_pref_size 33
		.amdhsa_round_robin_scheduling 0
		.amdhsa_exception_fp_ieee_invalid_op 0
		.amdhsa_exception_fp_denorm_src 0
		.amdhsa_exception_fp_ieee_div_zero 0
		.amdhsa_exception_fp_ieee_overflow 0
		.amdhsa_exception_fp_ieee_underflow 0
		.amdhsa_exception_fp_ieee_inexact 0
		.amdhsa_exception_int_div_zero 0
	.end_amdhsa_kernel
	.section	.text._ZN9rocsparseL39bsrgeam_wf_per_row_multipass_2_3_kernelILj256ELj3ELj32EdEEv20rocsparse_direction_iiiNS_24const_host_device_scalarIT2_EEPKiS6_PKS3_S4_S6_S6_S8_S6_PiPS3_21rocsparse_index_base_SB_SB_b,"axG",@progbits,_ZN9rocsparseL39bsrgeam_wf_per_row_multipass_2_3_kernelILj256ELj3ELj32EdEEv20rocsparse_direction_iiiNS_24const_host_device_scalarIT2_EEPKiS6_PKS3_S4_S6_S6_S8_S6_PiPS3_21rocsparse_index_base_SB_SB_b,comdat
.Lfunc_end10:
	.size	_ZN9rocsparseL39bsrgeam_wf_per_row_multipass_2_3_kernelILj256ELj3ELj32EdEEv20rocsparse_direction_iiiNS_24const_host_device_scalarIT2_EEPKiS6_PKS3_S4_S6_S6_S8_S6_PiPS3_21rocsparse_index_base_SB_SB_b, .Lfunc_end10-_ZN9rocsparseL39bsrgeam_wf_per_row_multipass_2_3_kernelILj256ELj3ELj32EdEEv20rocsparse_direction_iiiNS_24const_host_device_scalarIT2_EEPKiS6_PKS3_S4_S6_S6_S8_S6_PiPS3_21rocsparse_index_base_SB_SB_b
                                        ; -- End function
	.set _ZN9rocsparseL39bsrgeam_wf_per_row_multipass_2_3_kernelILj256ELj3ELj32EdEEv20rocsparse_direction_iiiNS_24const_host_device_scalarIT2_EEPKiS6_PKS3_S4_S6_S6_S8_S6_PiPS3_21rocsparse_index_base_SB_SB_b.num_vgpr, 78
	.set _ZN9rocsparseL39bsrgeam_wf_per_row_multipass_2_3_kernelILj256ELj3ELj32EdEEv20rocsparse_direction_iiiNS_24const_host_device_scalarIT2_EEPKiS6_PKS3_S4_S6_S6_S8_S6_PiPS3_21rocsparse_index_base_SB_SB_b.num_agpr, 0
	.set _ZN9rocsparseL39bsrgeam_wf_per_row_multipass_2_3_kernelILj256ELj3ELj32EdEEv20rocsparse_direction_iiiNS_24const_host_device_scalarIT2_EEPKiS6_PKS3_S4_S6_S6_S8_S6_PiPS3_21rocsparse_index_base_SB_SB_b.numbered_sgpr, 28
	.set _ZN9rocsparseL39bsrgeam_wf_per_row_multipass_2_3_kernelILj256ELj3ELj32EdEEv20rocsparse_direction_iiiNS_24const_host_device_scalarIT2_EEPKiS6_PKS3_S4_S6_S6_S8_S6_PiPS3_21rocsparse_index_base_SB_SB_b.num_named_barrier, 0
	.set _ZN9rocsparseL39bsrgeam_wf_per_row_multipass_2_3_kernelILj256ELj3ELj32EdEEv20rocsparse_direction_iiiNS_24const_host_device_scalarIT2_EEPKiS6_PKS3_S4_S6_S6_S8_S6_PiPS3_21rocsparse_index_base_SB_SB_b.private_seg_size, 0
	.set _ZN9rocsparseL39bsrgeam_wf_per_row_multipass_2_3_kernelILj256ELj3ELj32EdEEv20rocsparse_direction_iiiNS_24const_host_device_scalarIT2_EEPKiS6_PKS3_S4_S6_S6_S8_S6_PiPS3_21rocsparse_index_base_SB_SB_b.uses_vcc, 1
	.set _ZN9rocsparseL39bsrgeam_wf_per_row_multipass_2_3_kernelILj256ELj3ELj32EdEEv20rocsparse_direction_iiiNS_24const_host_device_scalarIT2_EEPKiS6_PKS3_S4_S6_S6_S8_S6_PiPS3_21rocsparse_index_base_SB_SB_b.uses_flat_scratch, 0
	.set _ZN9rocsparseL39bsrgeam_wf_per_row_multipass_2_3_kernelILj256ELj3ELj32EdEEv20rocsparse_direction_iiiNS_24const_host_device_scalarIT2_EEPKiS6_PKS3_S4_S6_S6_S8_S6_PiPS3_21rocsparse_index_base_SB_SB_b.has_dyn_sized_stack, 0
	.set _ZN9rocsparseL39bsrgeam_wf_per_row_multipass_2_3_kernelILj256ELj3ELj32EdEEv20rocsparse_direction_iiiNS_24const_host_device_scalarIT2_EEPKiS6_PKS3_S4_S6_S6_S8_S6_PiPS3_21rocsparse_index_base_SB_SB_b.has_recursion, 0
	.set _ZN9rocsparseL39bsrgeam_wf_per_row_multipass_2_3_kernelILj256ELj3ELj32EdEEv20rocsparse_direction_iiiNS_24const_host_device_scalarIT2_EEPKiS6_PKS3_S4_S6_S6_S8_S6_PiPS3_21rocsparse_index_base_SB_SB_b.has_indirect_call, 0
	.section	.AMDGPU.csdata,"",@progbits
; Kernel info:
; codeLenInByte = 4132
; TotalNumSgprs: 30
; NumVgprs: 78
; ScratchSize: 0
; MemoryBound: 0
; FloatMode: 240
; IeeeMode: 1
; LDSByteSize: 18688 bytes/workgroup (compile time only)
; SGPRBlocks: 0
; VGPRBlocks: 9
; NumSGPRsForWavesPerEU: 30
; NumVGPRsForWavesPerEU: 78
; Occupancy: 14
; WaveLimiterHint : 1
; COMPUTE_PGM_RSRC2:SCRATCH_EN: 0
; COMPUTE_PGM_RSRC2:USER_SGPR: 2
; COMPUTE_PGM_RSRC2:TRAP_HANDLER: 0
; COMPUTE_PGM_RSRC2:TGID_X_EN: 1
; COMPUTE_PGM_RSRC2:TGID_Y_EN: 0
; COMPUTE_PGM_RSRC2:TGID_Z_EN: 0
; COMPUTE_PGM_RSRC2:TIDIG_COMP_CNT: 0
	.section	.text._ZN9rocsparseL39bsrgeam_wf_per_row_multipass_2_3_kernelILj256ELj3ELj64EdEEv20rocsparse_direction_iiiNS_24const_host_device_scalarIT2_EEPKiS6_PKS3_S4_S6_S6_S8_S6_PiPS3_21rocsparse_index_base_SB_SB_b,"axG",@progbits,_ZN9rocsparseL39bsrgeam_wf_per_row_multipass_2_3_kernelILj256ELj3ELj64EdEEv20rocsparse_direction_iiiNS_24const_host_device_scalarIT2_EEPKiS6_PKS3_S4_S6_S6_S8_S6_PiPS3_21rocsparse_index_base_SB_SB_b,comdat
	.globl	_ZN9rocsparseL39bsrgeam_wf_per_row_multipass_2_3_kernelILj256ELj3ELj64EdEEv20rocsparse_direction_iiiNS_24const_host_device_scalarIT2_EEPKiS6_PKS3_S4_S6_S6_S8_S6_PiPS3_21rocsparse_index_base_SB_SB_b ; -- Begin function _ZN9rocsparseL39bsrgeam_wf_per_row_multipass_2_3_kernelILj256ELj3ELj64EdEEv20rocsparse_direction_iiiNS_24const_host_device_scalarIT2_EEPKiS6_PKS3_S4_S6_S6_S8_S6_PiPS3_21rocsparse_index_base_SB_SB_b
	.p2align	8
	.type	_ZN9rocsparseL39bsrgeam_wf_per_row_multipass_2_3_kernelILj256ELj3ELj64EdEEv20rocsparse_direction_iiiNS_24const_host_device_scalarIT2_EEPKiS6_PKS3_S4_S6_S6_S8_S6_PiPS3_21rocsparse_index_base_SB_SB_b,@function
_ZN9rocsparseL39bsrgeam_wf_per_row_multipass_2_3_kernelILj256ELj3ELj64EdEEv20rocsparse_direction_iiiNS_24const_host_device_scalarIT2_EEPKiS6_PKS3_S4_S6_S6_S8_S6_PiPS3_21rocsparse_index_base_SB_SB_b: ; @_ZN9rocsparseL39bsrgeam_wf_per_row_multipass_2_3_kernelILj256ELj3ELj64EdEEv20rocsparse_direction_iiiNS_24const_host_device_scalarIT2_EEPKiS6_PKS3_S4_S6_S6_S8_S6_PiPS3_21rocsparse_index_base_SB_SB_b
; %bb.0:
	s_clause 0x2
	s_load_b128 s[4:7], s[0:1], 0x68
	s_load_b64 s[8:9], s[0:1], 0x10
	s_load_b64 s[2:3], s[0:1], 0x30
	s_wait_kmcnt 0x0
	s_bitcmp1_b32 s7, 0
	v_dual_mov_b32 v4, s8 :: v_dual_mov_b32 v5, s9
	s_cselect_b32 s7, -1, 0
	s_delay_alu instid0(SALU_CYCLE_1)
	s_and_b32 vcc_lo, exec_lo, s7
	s_xor_b32 s7, s7, -1
	s_cbranch_vccnz .LBB11_2
; %bb.1:
	v_dual_mov_b32 v1, s8 :: v_dual_mov_b32 v2, s9
	flat_load_b64 v[4:5], v[1:2]
.LBB11_2:
	v_dual_mov_b32 v7, s3 :: v_dual_mov_b32 v6, s2
	s_and_not1_b32 vcc_lo, exec_lo, s7
	s_cbranch_vccnz .LBB11_4
; %bb.3:
	v_dual_mov_b32 v1, s2 :: v_dual_mov_b32 v2, s3
	flat_load_b64 v[6:7], v[1:2]
.LBB11_4:
	s_load_b96 s[20:22], s[0:1], 0x0
	v_lshrrev_b32_e32 v12, 6, v0
	s_lshl_b32 s2, ttmp9, 2
	s_wait_alu 0xfffe
	s_delay_alu instid0(VALU_DEP_1) | instskip(SKIP_2) | instid1(VALU_DEP_1)
	v_and_or_b32 v1, 0x3fffffc, s2, v12
	s_mov_b32 s2, exec_lo
	s_wait_kmcnt 0x0
	v_cmpx_gt_i32_e64 s21, v1
	s_cbranch_execz .LBB11_39
; %bb.5:
	s_clause 0x2
	s_load_b128 s[8:11], s[0:1], 0x18
	s_load_b128 s[12:15], s[0:1], 0x38
	s_load_b64 s[2:3], s[0:1], 0x50
	v_lshlrev_b32_e32 v1, 2, v1
	s_wait_kmcnt 0x0
	s_clause 0x2
	global_load_b64 v[2:3], v1, s[8:9]
	global_load_b64 v[8:9], v1, s[12:13]
	global_load_b32 v13, v1, s[2:3]
	s_wait_loadcnt 0x2
	v_subrev_nc_u32_e32 v1, s4, v2
	v_cmp_lt_i32_e32 vcc_lo, v2, v3
	v_mov_b32_e32 v2, s22
	s_and_saveexec_b32 s2, vcc_lo
	s_cbranch_execz .LBB11_7
; %bb.6:
	v_ashrrev_i32_e32 v2, 31, v1
	s_delay_alu instid0(VALU_DEP_1) | instskip(NEXT) | instid1(VALU_DEP_1)
	v_lshlrev_b64_e32 v[10:11], 2, v[1:2]
	v_add_co_u32 v10, vcc_lo, s10, v10
	s_delay_alu instid0(VALU_DEP_1)
	v_add_co_ci_u32_e64 v11, null, s11, v11, vcc_lo
	global_load_b32 v2, v[10:11], off
	s_wait_loadcnt 0x0
	v_subrev_nc_u32_e32 v2, s4, v2
.LBB11_7:
	s_wait_alu 0xfffe
	s_or_b32 exec_lo, exec_lo, s2
	s_clause 0x2
	s_load_b128 s[16:19], s[0:1], 0x58
	s_load_b64 s[2:3], s[0:1], 0x28
	s_load_b64 s[8:9], s[0:1], 0x48
	s_wait_loadcnt 0x1
	v_subrev_nc_u32_e32 v10, s5, v8
	v_cmp_lt_i32_e32 vcc_lo, v8, v9
	v_mov_b32_e32 v8, s22
	s_and_saveexec_b32 s0, vcc_lo
	s_cbranch_execz .LBB11_9
; %bb.8:
	v_ashrrev_i32_e32 v11, 31, v10
	s_delay_alu instid0(VALU_DEP_1) | instskip(NEXT) | instid1(VALU_DEP_1)
	v_lshlrev_b64_e32 v[14:15], 2, v[10:11]
	v_add_co_u32 v14, vcc_lo, s14, v14
	s_wait_alu 0xfffd
	s_delay_alu instid0(VALU_DEP_2)
	v_add_co_ci_u32_e64 v15, null, s15, v15, vcc_lo
	global_load_b32 v8, v[14:15], off
	s_wait_loadcnt 0x0
	v_subrev_nc_u32_e32 v8, s5, v8
.LBB11_9:
	s_or_b32 exec_lo, exec_lo, s0
	v_subrev_nc_u32_e32 v35, s4, v3
	v_mbcnt_lo_u32_b32 v3, -1, 0
	v_and_b32_e32 v11, 63, v0
	s_movk_i32 s0, 0xc0
	v_min_i32_e32 v49, v8, v2
	v_and_or_b32 v33, v0, s0, 0x4800
	v_xor_b32_e32 v2, 16, v3
	v_mul_u32_u24_e32 v0, 0x48, v11
	v_mul_u32_u24_e32 v34, 0x1200, v12
	s_wait_loadcnt 0x0
	v_subrev_nc_u32_e32 v37, s6, v13
	v_subrev_nc_u32_e32 v36, s5, v9
	v_xor_b32_e32 v9, 2, v3
	v_mad_u32_u24 v38, 0x1200, v12, v0
	v_or_b32_e32 v0, 32, v3
	s_mov_b32 s12, 0
	s_cmp_lg_u32 s20, 0
	s_mov_b32 s13, s12
	s_mov_b32 s24, s12
	v_cmp_gt_i32_e32 vcc_lo, 32, v0
	s_mov_b32 s25, s12
	s_cselect_b32 s1, -1, 0
	s_cmp_eq_u32 s20, 0
	v_mov_b32_e32 v14, 0
	s_wait_alu 0xfffd
	v_cndmask_b32_e32 v0, v3, v0, vcc_lo
	v_cmp_gt_i32_e32 vcc_lo, 32, v2
	v_add_nc_u32_e32 v8, v1, v11
	v_xor_b32_e32 v1, 63, v11
	s_cselect_b32 s7, 16, 48
	s_cselect_b32 s20, 24, 8
	;; [unrolled: 1-line block ×4, first 2 shown]
	v_lshrrev_b64 v[12:13], v1, -1
	v_xor_b32_e32 v13, 1, v3
	v_lshlrev_b32_e32 v40, 2, v0
	v_xor_b32_e32 v0, 8, v3
	s_wait_alu 0xfffd
	v_cndmask_b32_e32 v1, v3, v2, vcc_lo
	v_xor_b32_e32 v2, 4, v3
	v_mov_b32_e32 v17, s24
	v_mov_b32_e32 v19, v14
	v_cmp_gt_i32_e32 vcc_lo, 32, v0
	v_dual_mov_b32 v20, v14 :: v_dual_lshlrev_b32 v41, 2, v1
	v_dual_mov_b32 v18, s25 :: v_dual_mov_b32 v47, 1
	s_wait_alu 0xfffd
	v_cndmask_b32_e32 v0, v3, v0, vcc_lo
	v_cmp_gt_i32_e32 vcc_lo, 32, v2
	v_dual_mov_b32 v16, s13 :: v_dual_mov_b32 v15, s12
	s_cselect_b32 s13, 40, 56
	s_delay_alu instid0(VALU_DEP_3)
	v_lshlrev_b32_e32 v42, 2, v0
	s_wait_alu 0xfffd
	v_cndmask_b32_e32 v2, v3, v2, vcc_lo
	v_cmp_gt_i32_e32 vcc_lo, 32, v9
	v_add_nc_u32_e32 v10, v10, v11
	v_add_nc_u32_e32 v39, s6, v11
	;; [unrolled: 1-line block ×3, first 2 shown]
	v_lshlrev_b32_e32 v43, 2, v2
	s_wait_alu 0xfffd
	v_cndmask_b32_e32 v9, v3, v9, vcc_lo
	v_cmp_gt_i32_e32 vcc_lo, 32, v13
	s_cselect_b32 s6, 8, 24
	s_delay_alu instid0(VALU_DEP_2) | instskip(SKIP_2) | instid1(VALU_DEP_1)
	v_lshlrev_b32_e32 v44, 2, v9
	s_wait_alu 0xfffd
	v_cndmask_b32_e32 v3, v3, v13, vcc_lo
	v_lshlrev_b32_e32 v45, 2, v3
	s_branch .LBB11_11
.LBB11_10:                              ;   in Loop: Header=BB11_11 Depth=1
	s_wait_alu 0xfffe
	s_or_b32 exec_lo, exec_lo, s24
	ds_bpermute_b32 v0, v40, v48
	s_bcnt1_i32_b32 s24, vcc_lo
	s_wait_alu 0xfffe
	v_add_nc_u32_e32 v37, s24, v37
	s_wait_dscnt 0x0
	v_min_i32_e32 v0, v0, v48
	ds_bpermute_b32 v1, v41, v0
	s_wait_dscnt 0x0
	v_min_i32_e32 v0, v1, v0
	ds_bpermute_b32 v1, v42, v0
	;; [unrolled: 3-line block ×5, first 2 shown]
	s_wait_dscnt 0x0
	v_min_i32_e32 v49, v1, v0
	s_delay_alu instid0(VALU_DEP_1)
	v_cmp_le_i32_e64 s0, s22, v49
	s_or_b32 s12, s0, s12
	s_wait_alu 0xfffe
	s_and_not1_b32 exec_lo, exec_lo, s12
	s_cbranch_execz .LBB11_39
.LBB11_11:                              ; =>This Loop Header: Depth=1
                                        ;     Child Loop BB11_14 Depth 2
                                        ;     Child Loop BB11_27 Depth 2
	v_mov_b32_e32 v48, s22
	s_mov_b32 s24, exec_lo
	ds_store_2addr_b64 v38, v[15:16], v[17:18] offset1:1
	ds_store_2addr_b64 v38, v[15:16], v[17:18] offset0:2 offset1:3
	ds_store_2addr_b64 v38, v[15:16], v[17:18] offset0:4 offset1:5
	;; [unrolled: 1-line block ×3, first 2 shown]
	ds_store_b8 v46, v14
	ds_store_b64 v38, v[19:20] offset:64
	s_wait_dscnt 0x0
	global_inv scope:SCOPE_SE
	v_cmpx_lt_i32_e64 v8, v35
	s_cbranch_execz .LBB11_24
; %bb.12:                               ;   in Loop: Header=BB11_11 Depth=1
	v_mad_co_u64_u32 v[0:1], null, v8, 9, 8
	v_mov_b32_e32 v48, s22
	s_mov_b32 s25, 0
	s_branch .LBB11_14
.LBB11_13:                              ;   in Loop: Header=BB11_14 Depth=2
	s_or_b32 exec_lo, exec_lo, s27
	s_delay_alu instid0(SALU_CYCLE_1)
	s_and_b32 s0, exec_lo, s26
	s_wait_alu 0xfffe
	s_or_b32 s25, s0, s25
	s_wait_alu 0xfffe
	s_and_not1_b32 exec_lo, exec_lo, s25
	s_cbranch_execz .LBB11_23
.LBB11_14:                              ;   Parent Loop BB11_11 Depth=1
                                        ; =>  This Inner Loop Header: Depth=2
	v_ashrrev_i32_e32 v9, 31, v8
	s_mov_b32 s26, exec_lo
	s_delay_alu instid0(VALU_DEP_1) | instskip(NEXT) | instid1(VALU_DEP_1)
	v_lshlrev_b64_e32 v[1:2], 2, v[8:9]
	v_add_co_u32 v1, vcc_lo, s10, v1
	s_wait_alu 0xfffd
	s_delay_alu instid0(VALU_DEP_2) | instskip(SKIP_3) | instid1(VALU_DEP_1)
	v_add_co_ci_u32_e64 v2, null, s11, v2, vcc_lo
	global_load_b32 v1, v[1:2], off
	s_wait_loadcnt 0x0
	v_subrev_nc_u32_e32 v2, s4, v1
	v_sub_nc_u32_e32 v1, v2, v49
	s_delay_alu instid0(VALU_DEP_1)
	v_cmp_gt_u32_e64 s0, 64, v1
	v_cmpx_lt_u32_e32 63, v1
	s_xor_b32 s26, exec_lo, s26
; %bb.15:                               ;   in Loop: Header=BB11_14 Depth=2
	v_min_i32_e32 v48, v2, v48
                                        ; implicit-def: $vgpr1
; %bb.16:                               ;   in Loop: Header=BB11_14 Depth=2
	s_and_not1_saveexec_b32 s26, s26
	s_cbranch_execz .LBB11_21
; %bb.17:                               ;   in Loop: Header=BB11_14 Depth=2
	v_add_nc_u32_e32 v13, -8, v0
	v_mul_lo_u32 v9, 0x48, v1
	v_add_nc_u32_e32 v1, v33, v1
	v_add_nc_u32_e32 v23, -2, v0
	v_add_nc_u32_e32 v29, -7, v0
	v_lshlrev_b64_e32 v[2:3], 3, v[13:14]
	v_add_nc_u32_e32 v13, -4, v0
	v_add_nc_u32_e32 v21, -1, v0
	v_add_nc_u32_e32 v27, -6, v0
	v_add_nc_u32_e32 v9, v34, v9
	v_add_nc_u32_e32 v25, -3, v0
	s_wait_kmcnt 0x0
	v_add_co_u32 v2, vcc_lo, s2, v2
	s_wait_alu 0xfffd
	v_add_co_ci_u32_e64 v3, null, s3, v3, vcc_lo
	s_mov_b32 s27, -1
	global_load_b64 v[2:3], v[2:3], off
	s_wait_loadcnt 0x0
	v_mul_f64_e32 v[30:31], v[4:5], v[2:3]
	v_lshlrev_b64_e32 v[2:3], 3, v[13:14]
	v_add_nc_u32_e32 v13, -5, v0
	ds_store_b8 v1, v47
	ds_store_b64 v9, v[30:31]
	v_add_co_u32 v2, vcc_lo, s2, v2
	s_wait_alu 0xfffd
	v_add_co_ci_u32_e64 v3, null, s3, v3, vcc_lo
	s_wait_alu 0xfffe
	s_and_not1_b32 vcc_lo, exec_lo, s1
	s_wait_alu 0xfffe
	s_cbranch_vccnz .LBB11_19
; %bb.18:                               ;   in Loop: Header=BB11_14 Depth=2
	v_dual_mov_b32 v24, v14 :: v_dual_mov_b32 v1, v14
	v_mov_b32_e32 v30, v14
	v_lshlrev_b64_e32 v[31:32], 3, v[13:14]
	v_mov_b32_e32 v22, v14
	s_delay_alu instid0(VALU_DEP_4)
	v_lshlrev_b64_e32 v[50:51], 3, v[23:24]
	v_mov_b32_e32 v28, v14
	v_lshlrev_b64_e32 v[52:53], 3, v[29:30]
	v_mov_b32_e32 v26, v14
	v_add_co_u32 v30, vcc_lo, s2, v31
	v_lshlrev_b64_e32 v[54:55], 3, v[21:22]
	s_wait_alu 0xfffd
	v_add_co_ci_u32_e64 v31, null, s3, v32, vcc_lo
	v_add_co_u32 v50, vcc_lo, s2, v50
	v_lshlrev_b64_e32 v[56:57], 3, v[27:28]
	s_wait_alu 0xfffd
	v_add_co_ci_u32_e64 v51, null, s3, v51, vcc_lo
	;; [unrolled: 4-line block ×4, first 2 shown]
	v_add_co_u32 v56, vcc_lo, s2, v56
	s_wait_alu 0xfffd
	v_add_co_ci_u32_e64 v57, null, s3, v57, vcc_lo
	v_add_co_u32 v58, vcc_lo, s2, v58
	s_wait_alu 0xfffd
	v_add_co_ci_u32_e64 v59, null, s3, v59, vcc_lo
	;; [unrolled: 3-line block ×3, first 2 shown]
	s_clause 0x7
	global_load_b64 v[30:31], v[30:31], off
	global_load_b64 v[50:51], v[50:51], off
	;; [unrolled: 1-line block ×8, first 2 shown]
	s_mov_b32 s27, 0
	s_wait_loadcnt 0x7
	v_mul_f64_e32 v[30:31], v[4:5], v[30:31]
	s_wait_loadcnt 0x6
	v_mul_f64_e32 v[50:51], v[4:5], v[50:51]
	;; [unrolled: 2-line block ×8, first 2 shown]
	ds_store_2addr_b64 v9, v[30:31], v[50:51] offset0:1 offset1:2
	ds_store_2addr_b64 v9, v[52:53], v[62:63] offset0:3 offset1:4
	;; [unrolled: 1-line block ×4, first 2 shown]
.LBB11_19:                              ;   in Loop: Header=BB11_14 Depth=2
	s_and_not1_b32 vcc_lo, exec_lo, s27
	s_wait_alu 0xfffe
	s_cbranch_vccnz .LBB11_21
; %bb.20:                               ;   in Loop: Header=BB11_14 Depth=2
	v_dual_mov_b32 v30, v14 :: v_dual_mov_b32 v1, v14
	v_mov_b32_e32 v28, v14
	v_mov_b32_e32 v26, v14
	;; [unrolled: 1-line block ×3, first 2 shown]
	s_delay_alu instid0(VALU_DEP_4)
	v_lshlrev_b64_e32 v[29:30], 3, v[29:30]
	v_lshlrev_b64_e32 v[31:32], 3, v[13:14]
	;; [unrolled: 1-line block ×3, first 2 shown]
	v_mov_b32_e32 v22, v14
	v_lshlrev_b64_e32 v[25:26], 3, v[25:26]
	v_lshlrev_b64_e32 v[23:24], 3, v[23:24]
	v_add_co_u32 v29, vcc_lo, s2, v29
	s_wait_alu 0xfffd
	v_add_co_ci_u32_e64 v30, null, s3, v30, vcc_lo
	v_add_co_u32 v27, vcc_lo, s2, v27
	s_wait_alu 0xfffd
	v_add_co_ci_u32_e64 v28, null, s3, v28, vcc_lo
	v_add_co_u32 v31, vcc_lo, s2, v31
	v_lshlrev_b64_e32 v[21:22], 3, v[21:22]
	s_wait_alu 0xfffd
	v_add_co_ci_u32_e64 v32, null, s3, v32, vcc_lo
	v_add_co_u32 v25, vcc_lo, s2, v25
	v_lshlrev_b64_e32 v[50:51], 3, v[0:1]
	s_wait_alu 0xfffd
	v_add_co_ci_u32_e64 v26, null, s3, v26, vcc_lo
	v_add_co_u32 v23, vcc_lo, s2, v23
	s_wait_alu 0xfffd
	v_add_co_ci_u32_e64 v24, null, s3, v24, vcc_lo
	v_add_co_u32 v21, vcc_lo, s2, v21
	;; [unrolled: 3-line block ×3, first 2 shown]
	s_wait_alu 0xfffd
	v_add_co_ci_u32_e64 v51, null, s3, v51, vcc_lo
	s_clause 0x7
	global_load_b64 v[29:30], v[29:30], off
	global_load_b64 v[27:28], v[27:28], off
	;; [unrolled: 1-line block ×8, first 2 shown]
	s_wait_loadcnt 0x7
	v_mul_f64_e32 v[29:30], v[4:5], v[29:30]
	s_wait_loadcnt 0x6
	v_mul_f64_e32 v[27:28], v[4:5], v[27:28]
	;; [unrolled: 2-line block ×8, first 2 shown]
	ds_store_2addr_b64 v9, v[29:30], v[27:28] offset0:1 offset1:2
	ds_store_2addr_b64 v9, v[31:32], v[1:2] offset0:3 offset1:4
	ds_store_2addr_b64 v9, v[25:26], v[23:24] offset0:5 offset1:6
	ds_store_2addr_b64 v9, v[21:22], v[50:51] offset0:7 offset1:8
.LBB11_21:                              ;   in Loop: Header=BB11_14 Depth=2
	s_or_b32 exec_lo, exec_lo, s26
	s_mov_b32 s26, -1
	s_and_saveexec_b32 s27, s0
	s_cbranch_execz .LBB11_13
; %bb.22:                               ;   in Loop: Header=BB11_14 Depth=2
	v_add_nc_u32_e32 v8, 64, v8
	v_add_nc_u32_e32 v0, 0x240, v0
	s_delay_alu instid0(VALU_DEP_2)
	v_cmp_ge_i32_e32 vcc_lo, v8, v35
	s_or_not1_b32 s26, vcc_lo, exec_lo
	s_branch .LBB11_13
.LBB11_23:                              ;   in Loop: Header=BB11_11 Depth=1
	s_or_b32 exec_lo, exec_lo, s25
.LBB11_24:                              ;   in Loop: Header=BB11_11 Depth=1
	s_wait_alu 0xfffe
	s_or_b32 exec_lo, exec_lo, s24
	s_delay_alu instid0(SALU_CYCLE_1)
	s_mov_b32 s24, exec_lo
	s_wait_loadcnt_dscnt 0x0
	global_inv scope:SCOPE_SE
	v_cmpx_lt_i32_e64 v10, v36
	s_cbranch_execz .LBB11_37
; %bb.25:                               ;   in Loop: Header=BB11_11 Depth=1
	v_mad_co_u64_u32 v[21:22], null, v10, 9, 8
	s_mov_b32 s25, 0
	s_branch .LBB11_27
.LBB11_26:                              ;   in Loop: Header=BB11_27 Depth=2
	s_or_b32 exec_lo, exec_lo, s27
	s_delay_alu instid0(SALU_CYCLE_1)
	s_and_b32 s0, exec_lo, s26
	s_wait_alu 0xfffe
	s_or_b32 s25, s0, s25
	s_wait_alu 0xfffe
	s_and_not1_b32 exec_lo, exec_lo, s25
	s_cbranch_execz .LBB11_36
.LBB11_27:                              ;   Parent Loop BB11_11 Depth=1
                                        ; =>  This Inner Loop Header: Depth=2
	v_ashrrev_i32_e32 v11, 31, v10
	s_mov_b32 s26, exec_lo
	s_delay_alu instid0(VALU_DEP_1) | instskip(NEXT) | instid1(VALU_DEP_1)
	v_lshlrev_b64_e32 v[0:1], 2, v[10:11]
	v_add_co_u32 v0, vcc_lo, s14, v0
	s_wait_alu 0xfffd
	s_delay_alu instid0(VALU_DEP_2) | instskip(SKIP_3) | instid1(VALU_DEP_1)
	v_add_co_ci_u32_e64 v1, null, s15, v1, vcc_lo
	global_load_b32 v0, v[0:1], off
	s_wait_loadcnt 0x0
	v_subrev_nc_u32_e32 v0, s5, v0
	v_sub_nc_u32_e32 v11, v0, v49
	s_delay_alu instid0(VALU_DEP_1)
	v_cmp_gt_u32_e64 s0, 64, v11
	v_cmpx_lt_u32_e32 63, v11
	s_xor_b32 s26, exec_lo, s26
; %bb.28:                               ;   in Loop: Header=BB11_27 Depth=2
	v_min_i32_e32 v48, v0, v48
                                        ; implicit-def: $vgpr11
; %bb.29:                               ;   in Loop: Header=BB11_27 Depth=2
	s_and_not1_saveexec_b32 s26, s26
	s_cbranch_execz .LBB11_34
; %bb.30:                               ;   in Loop: Header=BB11_27 Depth=2
	v_add_nc_u32_e32 v13, -8, v21
	v_add_nc_u32_e32 v25, -2, v21
	;; [unrolled: 1-line block ×5, first 2 shown]
	v_lshlrev_b64_e32 v[0:1], 3, v[13:14]
	v_add_nc_u32_e32 v13, -4, v21
	s_mov_b32 s27, -1
	s_wait_kmcnt 0x0
	s_delay_alu instid0(VALU_DEP_2)
	v_add_co_u32 v0, vcc_lo, s8, v0
	s_wait_alu 0xfffd
	v_add_co_ci_u32_e64 v1, null, s9, v1, vcc_lo
	global_load_b64 v[22:23], v[0:1], off
	v_mul_lo_u32 v0, 0x48, v11
	v_add_nc_u32_e32 v11, v33, v11
	s_delay_alu instid0(VALU_DEP_2)
	v_add_nc_u32_e32 v9, v34, v0
	ds_load_2addr_b64 v[0:3], v9 offset1:1
	s_wait_loadcnt_dscnt 0x0
	v_fma_f64 v[50:51], v[6:7], v[22:23], v[0:1]
	v_lshlrev_b64_e32 v[0:1], 3, v[13:14]
	v_add_nc_u32_e32 v13, -5, v21
	ds_store_b8 v11, v47
	ds_store_b64 v9, v[50:51]
	v_add_co_u32 v23, vcc_lo, s8, v0
	s_wait_alu 0xfffd
	v_add_co_ci_u32_e64 v24, null, s9, v1, vcc_lo
	v_add_nc_u32_e32 v0, -1, v21
	s_and_not1_b32 vcc_lo, exec_lo, s1
	s_wait_alu 0xfffe
	s_cbranch_vccnz .LBB11_32
; %bb.31:                               ;   in Loop: Header=BB11_27 Depth=2
	v_dual_mov_b32 v26, v14 :: v_dual_mov_b32 v1, v14
	v_mov_b32_e32 v32, v14
	v_lshlrev_b64_e32 v[50:51], 3, v[13:14]
	v_mov_b32_e32 v30, v14
	s_delay_alu instid0(VALU_DEP_4)
	v_lshlrev_b64_e32 v[52:53], 3, v[25:26]
	v_mov_b32_e32 v28, v14
	v_lshlrev_b64_e32 v[54:55], 3, v[31:32]
	v_lshlrev_b64_e32 v[56:57], 3, v[0:1]
	v_add_co_u32 v50, vcc_lo, s8, v50
	v_mov_b32_e32 v22, v14
	s_wait_alu 0xfffd
	v_add_co_ci_u32_e64 v51, null, s9, v51, vcc_lo
	v_add_co_u32 v52, vcc_lo, s8, v52
	v_lshlrev_b64_e32 v[58:59], 3, v[29:30]
	s_wait_alu 0xfffd
	v_add_co_ci_u32_e64 v53, null, s9, v53, vcc_lo
	v_add_co_u32 v54, vcc_lo, s8, v54
	v_lshlrev_b64_e32 v[60:61], 3, v[27:28]
	;; [unrolled: 4-line block ×3, first 2 shown]
	s_wait_alu 0xfffd
	v_add_co_ci_u32_e64 v57, null, s9, v57, vcc_lo
	v_add_co_u32 v58, vcc_lo, s8, v58
	s_wait_alu 0xfffd
	v_add_co_ci_u32_e64 v59, null, s9, v59, vcc_lo
	v_add_co_u32 v60, vcc_lo, s8, v60
	global_load_b64 v[62:63], v[23:24], off
	s_wait_alu 0xfffd
	v_add_co_ci_u32_e64 v61, null, s9, v61, vcc_lo
	v_add_co_u32 v64, vcc_lo, s8, v64
	s_wait_alu 0xfffd
	v_add_co_ci_u32_e64 v65, null, s9, v65, vcc_lo
	s_clause 0x6
	global_load_b64 v[66:67], v[50:51], off
	global_load_b64 v[68:69], v[52:53], off
	;; [unrolled: 1-line block ×7, first 2 shown]
	ds_load_2addr_b64 v[50:53], v9 offset0:4 offset1:5
	ds_load_2addr_b64 v[54:57], v9 offset0:2 offset1:3
	;; [unrolled: 1-line block ×3, first 2 shown]
	ds_load_b64 v[78:79], v9 offset:64
	s_mov_b32 s27, 0
	s_wait_loadcnt_dscnt 0x703
	v_fma_f64 v[50:51], v[6:7], v[62:63], v[50:51]
	s_wait_loadcnt 0x6
	v_fma_f64 v[62:63], v[6:7], v[66:67], v[2:3]
	s_wait_loadcnt_dscnt 0x502
	v_fma_f64 v[54:55], v[6:7], v[68:69], v[54:55]
	s_wait_loadcnt 0x4
	v_fma_f64 v[56:57], v[6:7], v[70:71], v[56:57]
	s_wait_loadcnt 0x3
	v_fma_f64 v[52:53], v[6:7], v[72:73], v[52:53]
	s_wait_loadcnt_dscnt 0x201
	v_fma_f64 v[58:59], v[6:7], v[74:75], v[58:59]
	s_wait_loadcnt 0x1
	v_fma_f64 v[60:61], v[6:7], v[76:77], v[60:61]
	s_wait_loadcnt_dscnt 0x0
	v_fma_f64 v[64:65], v[6:7], v[64:65], v[78:79]
	ds_store_2addr_b64 v9, v[62:63], v[54:55] offset0:1 offset1:2
	ds_store_2addr_b64 v9, v[56:57], v[50:51] offset0:3 offset1:4
	ds_store_2addr_b64 v9, v[52:53], v[58:59] offset0:5 offset1:6
	ds_store_2addr_b64 v9, v[60:61], v[64:65] offset0:7 offset1:8
.LBB11_32:                              ;   in Loop: Header=BB11_27 Depth=2
	s_and_not1_b32 vcc_lo, exec_lo, s27
	s_wait_alu 0xfffe
	s_cbranch_vccnz .LBB11_34
; %bb.33:                               ;   in Loop: Header=BB11_27 Depth=2
	v_dual_mov_b32 v32, v14 :: v_dual_mov_b32 v1, v14
	v_mov_b32_e32 v30, v14
	v_mov_b32_e32 v28, v14
	v_lshlrev_b64_e32 v[50:51], 3, v[13:14]
	s_delay_alu instid0(VALU_DEP_4)
	v_lshlrev_b64_e32 v[31:32], 3, v[31:32]
	v_mov_b32_e32 v26, v14
	v_lshlrev_b64_e32 v[29:30], 3, v[29:30]
	v_lshlrev_b64_e32 v[27:28], 3, v[27:28]
	v_mov_b32_e32 v22, v14
	global_load_b64 v[54:55], v[23:24], off
	v_add_co_u32 v31, vcc_lo, s8, v31
	s_wait_alu 0xfffd
	v_add_co_ci_u32_e64 v32, null, s9, v32, vcc_lo
	v_add_co_u32 v29, vcc_lo, s8, v29
	s_wait_alu 0xfffd
	v_add_co_ci_u32_e64 v30, null, s9, v30, vcc_lo
	v_add_co_u32 v50, vcc_lo, s8, v50
	v_lshlrev_b64_e32 v[23:24], 3, v[25:26]
	s_wait_alu 0xfffd
	v_add_co_ci_u32_e64 v51, null, s9, v51, vcc_lo
	v_add_co_u32 v25, vcc_lo, s8, v27
	v_lshlrev_b64_e32 v[0:1], 3, v[0:1]
	s_wait_alu 0xfffd
	v_add_co_ci_u32_e64 v26, null, s9, v28, vcc_lo
	v_lshlrev_b64_e32 v[27:28], 3, v[21:22]
	v_add_co_u32 v23, vcc_lo, s8, v23
	s_wait_alu 0xfffd
	v_add_co_ci_u32_e64 v24, null, s9, v24, vcc_lo
	v_add_co_u32 v0, vcc_lo, s8, v0
	s_wait_alu 0xfffd
	v_add_co_ci_u32_e64 v1, null, s9, v1, vcc_lo
	;; [unrolled: 3-line block ×3, first 2 shown]
	s_clause 0x6
	global_load_b64 v[31:32], v[31:32], off
	global_load_b64 v[56:57], v[29:30], off
	;; [unrolled: 1-line block ×7, first 2 shown]
	ds_load_2addr_b64 v[22:25], v9 offset0:4 offset1:5
	ds_load_2addr_b64 v[26:29], v9 offset0:2 offset1:3
	ds_load_2addr_b64 v[50:53], v9 offset0:6 offset1:7
	ds_load_b64 v[66:67], v9 offset:64
	s_wait_loadcnt_dscnt 0x703
	v_fma_f64 v[22:23], v[6:7], v[54:55], v[22:23]
	s_wait_loadcnt 0x6
	v_fma_f64 v[2:3], v[6:7], v[31:32], v[2:3]
	s_wait_loadcnt_dscnt 0x502
	v_fma_f64 v[26:27], v[6:7], v[56:57], v[26:27]
	s_wait_loadcnt 0x4
	v_fma_f64 v[28:29], v[6:7], v[58:59], v[28:29]
	s_wait_loadcnt 0x3
	v_fma_f64 v[24:25], v[6:7], v[60:61], v[24:25]
	s_wait_loadcnt_dscnt 0x201
	v_fma_f64 v[30:31], v[6:7], v[62:63], v[50:51]
	s_wait_loadcnt 0x1
	v_fma_f64 v[0:1], v[6:7], v[0:1], v[52:53]
	s_wait_loadcnt_dscnt 0x0
	v_fma_f64 v[50:51], v[6:7], v[64:65], v[66:67]
	ds_store_2addr_b64 v9, v[2:3], v[26:27] offset0:1 offset1:2
	ds_store_2addr_b64 v9, v[28:29], v[22:23] offset0:3 offset1:4
	;; [unrolled: 1-line block ×4, first 2 shown]
.LBB11_34:                              ;   in Loop: Header=BB11_27 Depth=2
	s_or_b32 exec_lo, exec_lo, s26
	s_mov_b32 s26, -1
	s_and_saveexec_b32 s27, s0
	s_cbranch_execz .LBB11_26
; %bb.35:                               ;   in Loop: Header=BB11_27 Depth=2
	v_add_nc_u32_e32 v10, 64, v10
	v_add_nc_u32_e32 v21, 0x240, v21
	s_delay_alu instid0(VALU_DEP_2)
	v_cmp_ge_i32_e32 vcc_lo, v10, v36
	s_or_not1_b32 s26, vcc_lo, exec_lo
	s_branch .LBB11_26
.LBB11_36:                              ;   in Loop: Header=BB11_11 Depth=1
	s_or_b32 exec_lo, exec_lo, s25
.LBB11_37:                              ;   in Loop: Header=BB11_11 Depth=1
	s_wait_alu 0xfffe
	s_or_b32 exec_lo, exec_lo, s24
	s_wait_loadcnt_dscnt 0x0
	global_inv scope:SCOPE_SE
	ds_load_u8 v0, v46
	s_mov_b32 s24, exec_lo
	s_wait_dscnt 0x0
	v_and_b32_e32 v1, 1, v0
	v_cmp_ne_u16_e32 vcc_lo, 0, v0
	s_delay_alu instid0(VALU_DEP_2)
	v_cmpx_eq_u32_e32 1, v1
	s_cbranch_execz .LBB11_10
; %bb.38:                               ;   in Loop: Header=BB11_11 Depth=1
	s_wait_alu 0xfffd
	v_dual_mov_b32 v23, v14 :: v_dual_and_b32 v0, vcc_lo, v12
	v_add_nc_u32_e32 v9, v39, v49
	v_add_nc_u32_e32 v11, s7, v38
	;; [unrolled: 1-line block ×3, first 2 shown]
	s_delay_alu instid0(VALU_DEP_4) | instskip(SKIP_3) | instid1(VALU_DEP_4)
	v_bcnt_u32_b32 v0, v0, 0
	v_add_nc_u32_e32 v63, s21, v38
	v_dual_mov_b32 v50, v14 :: v_dual_add_nc_u32 v65, s23, v38
	v_mov_b32_e32 v52, v14
	v_add3_u32 v21, v37, v0, -1
	ds_load_2addr_b64 v[0:3], v38 offset1:4
	v_mov_b32_e32 v54, v14
	v_ashrrev_i32_e32 v22, 31, v21
	v_lshl_add_u32 v13, v21, 3, v21
	v_mov_b32_e32 v25, v14
	v_mov_b32_e32 v27, v14
	s_delay_alu instid0(VALU_DEP_4) | instskip(NEXT) | instid1(VALU_DEP_4)
	v_lshlrev_b64_e32 v[28:29], 2, v[21:22]
	v_add_nc_u32_e32 v22, 1, v13
	v_add_nc_u32_e32 v24, 2, v13
	v_lshlrev_b64_e32 v[30:31], 3, v[13:14]
	v_add_nc_u32_e32 v26, 3, v13
	v_add_nc_u32_e32 v21, 4, v13
	s_wait_kmcnt 0x0
	v_add_co_u32 v28, s0, s16, v28
	v_lshlrev_b64_e32 v[22:23], 3, v[22:23]
	s_wait_alu 0xf1ff
	v_add_co_ci_u32_e64 v29, null, s17, v29, s0
	v_lshlrev_b64_e32 v[24:25], 3, v[24:25]
	v_lshlrev_b64_e32 v[26:27], 3, v[26:27]
	v_add_co_u32 v30, s0, s18, v30
	s_wait_alu 0xf1ff
	v_add_co_ci_u32_e64 v31, null, s19, v31, s0
	global_store_b32 v[28:29], v9, off
	v_add_co_u32 v28, s0, s18, v22
	s_wait_alu 0xf1ff
	v_add_co_ci_u32_e64 v29, null, s19, v23, s0
	v_add_co_u32 v23, s0, s18, v24
	s_wait_alu 0xf1ff
	v_add_co_ci_u32_e64 v24, null, s19, v25, s0
	v_add_co_u32 v25, s0, s18, v26
	v_add_nc_u32_e32 v9, s6, v38
	s_wait_alu 0xf1ff
	v_add_co_ci_u32_e64 v26, null, s19, v27, s0
	v_dual_mov_b32 v22, v14 :: v_dual_add_nc_u32 v27, s20, v38
	ds_load_b64 v[55:56], v9
	ds_load_b64 v[57:58], v11
	;; [unrolled: 1-line block ×6, first 2 shown]
	ds_load_b64 v[67:68], v38 offset:64
	v_add_nc_u32_e32 v49, 5, v13
	v_add_nc_u32_e32 v51, 6, v13
	v_lshlrev_b64_e32 v[21:22], 3, v[21:22]
	v_add_nc_u32_e32 v53, 7, v13
	v_add_nc_u32_e32 v13, 8, v13
	v_lshlrev_b64_e32 v[49:50], 3, v[49:50]
	v_lshlrev_b64_e32 v[51:52], 3, v[51:52]
	v_add_co_u32 v21, s0, s18, v21
	v_lshlrev_b64_e32 v[53:54], 3, v[53:54]
	s_wait_alu 0xf1ff
	v_add_co_ci_u32_e64 v22, null, s19, v22, s0
	v_add_co_u32 v49, s0, s18, v49
	v_lshlrev_b64_e32 v[69:70], 3, v[13:14]
	s_wait_alu 0xf1ff
	v_add_co_ci_u32_e64 v50, null, s19, v50, s0
	v_add_co_u32 v51, s0, s18, v51
	s_wait_alu 0xf1ff
	v_add_co_ci_u32_e64 v52, null, s19, v52, s0
	v_add_co_u32 v53, s0, s18, v53
	;; [unrolled: 3-line block ×3, first 2 shown]
	s_wait_alu 0xf1ff
	v_add_co_ci_u32_e64 v70, null, s19, v70, s0
	s_wait_dscnt 0x7
	global_store_b64 v[30:31], v[0:1], off
	s_wait_dscnt 0x6
	global_store_b64 v[28:29], v[55:56], off
	;; [unrolled: 2-line block ×3, first 2 shown]
	s_wait_dscnt 0x4
	s_clause 0x1
	global_store_b64 v[25:26], v[59:60], off
	global_store_b64 v[21:22], v[2:3], off
	s_wait_dscnt 0x3
	global_store_b64 v[49:50], v[61:62], off
	s_wait_dscnt 0x2
	global_store_b64 v[51:52], v[63:64], off
	s_wait_dscnt 0x1
	global_store_b64 v[53:54], v[65:66], off
	s_wait_dscnt 0x0
	global_store_b64 v[69:70], v[67:68], off
	s_branch .LBB11_10
.LBB11_39:
	s_endpgm
	.section	.rodata,"a",@progbits
	.p2align	6, 0x0
	.amdhsa_kernel _ZN9rocsparseL39bsrgeam_wf_per_row_multipass_2_3_kernelILj256ELj3ELj64EdEEv20rocsparse_direction_iiiNS_24const_host_device_scalarIT2_EEPKiS6_PKS3_S4_S6_S6_S8_S6_PiPS3_21rocsparse_index_base_SB_SB_b
		.amdhsa_group_segment_fixed_size 18688
		.amdhsa_private_segment_fixed_size 0
		.amdhsa_kernarg_size 120
		.amdhsa_user_sgpr_count 2
		.amdhsa_user_sgpr_dispatch_ptr 0
		.amdhsa_user_sgpr_queue_ptr 0
		.amdhsa_user_sgpr_kernarg_segment_ptr 1
		.amdhsa_user_sgpr_dispatch_id 0
		.amdhsa_user_sgpr_private_segment_size 0
		.amdhsa_wavefront_size32 1
		.amdhsa_uses_dynamic_stack 0
		.amdhsa_enable_private_segment 0
		.amdhsa_system_sgpr_workgroup_id_x 1
		.amdhsa_system_sgpr_workgroup_id_y 0
		.amdhsa_system_sgpr_workgroup_id_z 0
		.amdhsa_system_sgpr_workgroup_info 0
		.amdhsa_system_vgpr_workitem_id 0
		.amdhsa_next_free_vgpr 80
		.amdhsa_next_free_sgpr 28
		.amdhsa_reserve_vcc 1
		.amdhsa_float_round_mode_32 0
		.amdhsa_float_round_mode_16_64 0
		.amdhsa_float_denorm_mode_32 3
		.amdhsa_float_denorm_mode_16_64 3
		.amdhsa_fp16_overflow 0
		.amdhsa_workgroup_processor_mode 1
		.amdhsa_memory_ordered 1
		.amdhsa_forward_progress 1
		.amdhsa_inst_pref_size 33
		.amdhsa_round_robin_scheduling 0
		.amdhsa_exception_fp_ieee_invalid_op 0
		.amdhsa_exception_fp_denorm_src 0
		.amdhsa_exception_fp_ieee_div_zero 0
		.amdhsa_exception_fp_ieee_overflow 0
		.amdhsa_exception_fp_ieee_underflow 0
		.amdhsa_exception_fp_ieee_inexact 0
		.amdhsa_exception_int_div_zero 0
	.end_amdhsa_kernel
	.section	.text._ZN9rocsparseL39bsrgeam_wf_per_row_multipass_2_3_kernelILj256ELj3ELj64EdEEv20rocsparse_direction_iiiNS_24const_host_device_scalarIT2_EEPKiS6_PKS3_S4_S6_S6_S8_S6_PiPS3_21rocsparse_index_base_SB_SB_b,"axG",@progbits,_ZN9rocsparseL39bsrgeam_wf_per_row_multipass_2_3_kernelILj256ELj3ELj64EdEEv20rocsparse_direction_iiiNS_24const_host_device_scalarIT2_EEPKiS6_PKS3_S4_S6_S6_S8_S6_PiPS3_21rocsparse_index_base_SB_SB_b,comdat
.Lfunc_end11:
	.size	_ZN9rocsparseL39bsrgeam_wf_per_row_multipass_2_3_kernelILj256ELj3ELj64EdEEv20rocsparse_direction_iiiNS_24const_host_device_scalarIT2_EEPKiS6_PKS3_S4_S6_S6_S8_S6_PiPS3_21rocsparse_index_base_SB_SB_b, .Lfunc_end11-_ZN9rocsparseL39bsrgeam_wf_per_row_multipass_2_3_kernelILj256ELj3ELj64EdEEv20rocsparse_direction_iiiNS_24const_host_device_scalarIT2_EEPKiS6_PKS3_S4_S6_S6_S8_S6_PiPS3_21rocsparse_index_base_SB_SB_b
                                        ; -- End function
	.set _ZN9rocsparseL39bsrgeam_wf_per_row_multipass_2_3_kernelILj256ELj3ELj64EdEEv20rocsparse_direction_iiiNS_24const_host_device_scalarIT2_EEPKiS6_PKS3_S4_S6_S6_S8_S6_PiPS3_21rocsparse_index_base_SB_SB_b.num_vgpr, 80
	.set _ZN9rocsparseL39bsrgeam_wf_per_row_multipass_2_3_kernelILj256ELj3ELj64EdEEv20rocsparse_direction_iiiNS_24const_host_device_scalarIT2_EEPKiS6_PKS3_S4_S6_S6_S8_S6_PiPS3_21rocsparse_index_base_SB_SB_b.num_agpr, 0
	.set _ZN9rocsparseL39bsrgeam_wf_per_row_multipass_2_3_kernelILj256ELj3ELj64EdEEv20rocsparse_direction_iiiNS_24const_host_device_scalarIT2_EEPKiS6_PKS3_S4_S6_S6_S8_S6_PiPS3_21rocsparse_index_base_SB_SB_b.numbered_sgpr, 28
	.set _ZN9rocsparseL39bsrgeam_wf_per_row_multipass_2_3_kernelILj256ELj3ELj64EdEEv20rocsparse_direction_iiiNS_24const_host_device_scalarIT2_EEPKiS6_PKS3_S4_S6_S6_S8_S6_PiPS3_21rocsparse_index_base_SB_SB_b.num_named_barrier, 0
	.set _ZN9rocsparseL39bsrgeam_wf_per_row_multipass_2_3_kernelILj256ELj3ELj64EdEEv20rocsparse_direction_iiiNS_24const_host_device_scalarIT2_EEPKiS6_PKS3_S4_S6_S6_S8_S6_PiPS3_21rocsparse_index_base_SB_SB_b.private_seg_size, 0
	.set _ZN9rocsparseL39bsrgeam_wf_per_row_multipass_2_3_kernelILj256ELj3ELj64EdEEv20rocsparse_direction_iiiNS_24const_host_device_scalarIT2_EEPKiS6_PKS3_S4_S6_S6_S8_S6_PiPS3_21rocsparse_index_base_SB_SB_b.uses_vcc, 1
	.set _ZN9rocsparseL39bsrgeam_wf_per_row_multipass_2_3_kernelILj256ELj3ELj64EdEEv20rocsparse_direction_iiiNS_24const_host_device_scalarIT2_EEPKiS6_PKS3_S4_S6_S6_S8_S6_PiPS3_21rocsparse_index_base_SB_SB_b.uses_flat_scratch, 0
	.set _ZN9rocsparseL39bsrgeam_wf_per_row_multipass_2_3_kernelILj256ELj3ELj64EdEEv20rocsparse_direction_iiiNS_24const_host_device_scalarIT2_EEPKiS6_PKS3_S4_S6_S6_S8_S6_PiPS3_21rocsparse_index_base_SB_SB_b.has_dyn_sized_stack, 0
	.set _ZN9rocsparseL39bsrgeam_wf_per_row_multipass_2_3_kernelILj256ELj3ELj64EdEEv20rocsparse_direction_iiiNS_24const_host_device_scalarIT2_EEPKiS6_PKS3_S4_S6_S6_S8_S6_PiPS3_21rocsparse_index_base_SB_SB_b.has_recursion, 0
	.set _ZN9rocsparseL39bsrgeam_wf_per_row_multipass_2_3_kernelILj256ELj3ELj64EdEEv20rocsparse_direction_iiiNS_24const_host_device_scalarIT2_EEPKiS6_PKS3_S4_S6_S6_S8_S6_PiPS3_21rocsparse_index_base_SB_SB_b.has_indirect_call, 0
	.section	.AMDGPU.csdata,"",@progbits
; Kernel info:
; codeLenInByte = 4156
; TotalNumSgprs: 30
; NumVgprs: 80
; ScratchSize: 0
; MemoryBound: 0
; FloatMode: 240
; IeeeMode: 1
; LDSByteSize: 18688 bytes/workgroup (compile time only)
; SGPRBlocks: 0
; VGPRBlocks: 9
; NumSGPRsForWavesPerEU: 30
; NumVGPRsForWavesPerEU: 80
; Occupancy: 14
; WaveLimiterHint : 1
; COMPUTE_PGM_RSRC2:SCRATCH_EN: 0
; COMPUTE_PGM_RSRC2:USER_SGPR: 2
; COMPUTE_PGM_RSRC2:TRAP_HANDLER: 0
; COMPUTE_PGM_RSRC2:TGID_X_EN: 1
; COMPUTE_PGM_RSRC2:TGID_Y_EN: 0
; COMPUTE_PGM_RSRC2:TGID_Z_EN: 0
; COMPUTE_PGM_RSRC2:TIDIG_COMP_CNT: 0
	.section	.text._ZN9rocsparseL35bsrgeam_wf_per_row_multipass_kernelILj64ELj4EdEEv20rocsparse_direction_iiiNS_24const_host_device_scalarIT1_EEPKiS6_PKS3_S4_S6_S6_S8_S6_PiPS3_21rocsparse_index_base_SB_SB_b,"axG",@progbits,_ZN9rocsparseL35bsrgeam_wf_per_row_multipass_kernelILj64ELj4EdEEv20rocsparse_direction_iiiNS_24const_host_device_scalarIT1_EEPKiS6_PKS3_S4_S6_S6_S8_S6_PiPS3_21rocsparse_index_base_SB_SB_b,comdat
	.globl	_ZN9rocsparseL35bsrgeam_wf_per_row_multipass_kernelILj64ELj4EdEEv20rocsparse_direction_iiiNS_24const_host_device_scalarIT1_EEPKiS6_PKS3_S4_S6_S6_S8_S6_PiPS3_21rocsparse_index_base_SB_SB_b ; -- Begin function _ZN9rocsparseL35bsrgeam_wf_per_row_multipass_kernelILj64ELj4EdEEv20rocsparse_direction_iiiNS_24const_host_device_scalarIT1_EEPKiS6_PKS3_S4_S6_S6_S8_S6_PiPS3_21rocsparse_index_base_SB_SB_b
	.p2align	8
	.type	_ZN9rocsparseL35bsrgeam_wf_per_row_multipass_kernelILj64ELj4EdEEv20rocsparse_direction_iiiNS_24const_host_device_scalarIT1_EEPKiS6_PKS3_S4_S6_S6_S8_S6_PiPS3_21rocsparse_index_base_SB_SB_b,@function
_ZN9rocsparseL35bsrgeam_wf_per_row_multipass_kernelILj64ELj4EdEEv20rocsparse_direction_iiiNS_24const_host_device_scalarIT1_EEPKiS6_PKS3_S4_S6_S6_S8_S6_PiPS3_21rocsparse_index_base_SB_SB_b: ; @_ZN9rocsparseL35bsrgeam_wf_per_row_multipass_kernelILj64ELj4EdEEv20rocsparse_direction_iiiNS_24const_host_device_scalarIT1_EEPKiS6_PKS3_S4_S6_S6_S8_S6_PiPS3_21rocsparse_index_base_SB_SB_b
; %bb.0:
	s_clause 0x2
	s_load_b128 s[4:7], s[0:1], 0x68
	s_load_b64 s[8:9], s[0:1], 0x10
	s_load_b64 s[2:3], s[0:1], 0x30
	s_wait_kmcnt 0x0
	s_bitcmp1_b32 s7, 0
	v_dual_mov_b32 v1, s8 :: v_dual_mov_b32 v2, s9
	s_cselect_b32 s7, -1, 0
	s_delay_alu instid0(SALU_CYCLE_1)
	s_and_b32 vcc_lo, exec_lo, s7
	s_xor_b32 s7, s7, -1
	s_cbranch_vccnz .LBB12_2
; %bb.1:
	v_dual_mov_b32 v1, s8 :: v_dual_mov_b32 v2, s9
	flat_load_b64 v[1:2], v[1:2]
.LBB12_2:
	s_load_b64 s[12:13], s[0:1], 0x18
	v_dual_mov_b32 v4, s3 :: v_dual_mov_b32 v3, s2
	s_and_not1_b32 vcc_lo, exec_lo, s7
	s_cbranch_vccnz .LBB12_4
; %bb.3:
	v_dual_mov_b32 v4, s3 :: v_dual_mov_b32 v3, s2
	flat_load_b64 v[3:4], v[3:4]
.LBB12_4:
	s_load_b128 s[8:11], s[0:1], 0x0
	v_lshrrev_b32_e32 v12, 4, v0
	v_dual_mov_b32 v20, 0 :: v_dual_mov_b32 v5, 0
	s_delay_alu instid0(VALU_DEP_2) | instskip(NEXT) | instid1(VALU_DEP_1)
	v_lshl_or_b32 v10, ttmp9, 2, v12
	v_ashrrev_i32_e32 v11, 31, v10
	s_wait_kmcnt 0x0
	v_cmp_gt_i32_e64 s2, s9, v10
	v_cmp_le_i32_e32 vcc_lo, s9, v10
	s_and_saveexec_b32 s7, s2
	s_cbranch_execz .LBB12_6
; %bb.5:
	v_lshlrev_b64_e32 v[5:6], 2, v[10:11]
	s_delay_alu instid0(VALU_DEP_1) | instskip(SKIP_1) | instid1(VALU_DEP_2)
	v_add_co_u32 v5, s3, s12, v5
	s_wait_alu 0xf1ff
	v_add_co_ci_u32_e64 v6, null, s13, v6, s3
	global_load_b32 v5, v[5:6], off
	s_wait_loadcnt 0x0
	v_subrev_nc_u32_e32 v5, s4, v5
.LBB12_6:
	s_or_b32 exec_lo, exec_lo, s7
	s_load_b64 s[14:15], s[0:1], 0x38
	s_and_saveexec_b32 s7, s2
	s_cbranch_execz .LBB12_8
; %bb.7:
	v_lshlrev_b64_e32 v[6:7], 2, v[10:11]
	s_delay_alu instid0(VALU_DEP_1) | instskip(SKIP_1) | instid1(VALU_DEP_2)
	v_add_co_u32 v6, s3, s12, v6
	s_wait_alu 0xf1ff
	v_add_co_ci_u32_e64 v7, null, s13, v7, s3
	global_load_b32 v6, v[6:7], off offset:4
	s_wait_loadcnt 0x0
	v_subrev_nc_u32_e32 v20, s4, v6
.LBB12_8:
	s_or_b32 exec_lo, exec_lo, s7
	v_mov_b32_e32 v21, 0
	v_mov_b32_e32 v7, 0
	s_and_saveexec_b32 s7, s2
	s_cbranch_execz .LBB12_10
; %bb.9:
	v_lshlrev_b64_e32 v[6:7], 2, v[10:11]
	s_wait_kmcnt 0x0
	s_delay_alu instid0(VALU_DEP_1) | instskip(SKIP_1) | instid1(VALU_DEP_2)
	v_add_co_u32 v6, s3, s14, v6
	s_wait_alu 0xf1ff
	v_add_co_ci_u32_e64 v7, null, s15, v7, s3
	global_load_b32 v6, v[6:7], off
	s_wait_loadcnt 0x0
	v_subrev_nc_u32_e32 v7, s5, v6
.LBB12_10:
	s_or_b32 exec_lo, exec_lo, s7
	s_and_saveexec_b32 s7, s2
	s_cbranch_execz .LBB12_12
; %bb.11:
	v_lshlrev_b64_e32 v[8:9], 2, v[10:11]
	s_wait_kmcnt 0x0
	s_delay_alu instid0(VALU_DEP_1) | instskip(SKIP_1) | instid1(VALU_DEP_2)
	v_add_co_u32 v8, s3, s14, v8
	s_wait_alu 0xf1ff
	v_add_co_ci_u32_e64 v9, null, s15, v9, s3
	global_load_b32 v6, v[8:9], off offset:4
	s_wait_loadcnt 0x0
	v_subrev_nc_u32_e32 v21, s5, v6
.LBB12_12:
	s_or_b32 exec_lo, exec_lo, s7
	s_load_b64 s[16:17], s[0:1], 0x20
	v_mov_b32_e32 v9, 0
	s_and_saveexec_b32 s3, s2
	s_cbranch_execz .LBB12_14
; %bb.13:
	s_load_b64 s[12:13], s[0:1], 0x50
	v_lshlrev_b64_e32 v[8:9], 2, v[10:11]
	s_wait_kmcnt 0x0
	s_delay_alu instid0(VALU_DEP_1) | instskip(SKIP_1) | instid1(VALU_DEP_2)
	v_add_co_u32 v8, s2, s12, v8
	s_wait_alu 0xf1ff
	v_add_co_ci_u32_e64 v9, null, s13, v9, s2
	global_load_b32 v6, v[8:9], off
	s_wait_loadcnt 0x0
	v_subrev_nc_u32_e32 v9, s6, v6
.LBB12_14:
	s_wait_alu 0xfffe
	s_or_b32 exec_lo, exec_lo, s3
	s_load_b64 s[18:19], s[0:1], 0x40
	v_mov_b32_e32 v6, s10
	s_mov_b32 s3, exec_lo
	v_cmpx_lt_i32_e64 v5, v20
	s_cbranch_execz .LBB12_16
; %bb.15:
	v_ashrrev_i32_e32 v6, 31, v5
	s_delay_alu instid0(VALU_DEP_1) | instskip(SKIP_1) | instid1(VALU_DEP_1)
	v_lshlrev_b64_e32 v[10:11], 2, v[5:6]
	s_wait_kmcnt 0x0
	v_add_co_u32 v10, s2, s16, v10
	s_wait_alu 0xf1ff
	s_delay_alu instid0(VALU_DEP_2)
	v_add_co_ci_u32_e64 v11, null, s17, v11, s2
	global_load_b32 v6, v[10:11], off
	s_wait_loadcnt 0x0
	v_subrev_nc_u32_e32 v6, s4, v6
.LBB12_16:
	s_wait_alu 0xfffe
	s_or_b32 exec_lo, exec_lo, s3
	v_mov_b32_e32 v8, s10
	s_mov_b32 s3, exec_lo
	v_cmpx_lt_i32_e64 v7, v21
	s_cbranch_execz .LBB12_18
; %bb.17:
	v_ashrrev_i32_e32 v8, 31, v7
	s_delay_alu instid0(VALU_DEP_1) | instskip(SKIP_1) | instid1(VALU_DEP_1)
	v_lshlrev_b64_e32 v[10:11], 2, v[7:8]
	s_wait_kmcnt 0x0
	v_add_co_u32 v10, s2, s18, v10
	s_wait_alu 0xf1ff
	s_delay_alu instid0(VALU_DEP_2)
	v_add_co_ci_u32_e64 v11, null, s19, v11, s2
	global_load_b32 v8, v[10:11], off
	s_wait_loadcnt 0x0
	v_subrev_nc_u32_e32 v8, s5, v8
.LBB12_18:
	s_wait_alu 0xfffe
	s_or_b32 exec_lo, exec_lo, s3
	v_cndmask_b32_e64 v13, 0, 1, vcc_lo
	v_dual_mov_b32 v11, 0 :: v_dual_lshlrev_b32 v10, 2, v12
	ds_store_b32 v10, v13 offset:512
	s_wait_loadcnt_dscnt 0x0
	s_barrier_signal -1
	s_barrier_wait -1
	global_inv scope:SCOPE_SE
	ds_load_b32 v13, v11 offset:512
	s_wait_dscnt 0x0
	v_cmp_lt_u32_e32 vcc_lo, 3, v13
	s_cbranch_vccnz .LBB12_58
; %bb.19:
	s_cmp_lg_u32 s8, 0
	v_bfe_u32 v14, v0, 2, 2
	s_cselect_b32 s7, -1, 0
	s_cmp_eq_u32 s8, 0
	v_min_i32_e32 v30, v8, v6
	s_cselect_b32 vcc_lo, -1, 0
	v_and_b32_e32 v13, 3, v0
	v_and_b32_e32 v6, 48, v0
	s_wait_kmcnt 0x0
	s_clause 0x2
	s_load_b128 s[12:15], s[0:1], 0x58
	s_load_b64 s[20:21], s[0:1], 0x28
	s_load_b64 s[22:23], s[0:1], 0x48
	v_or_b32_e32 v22, 0x200, v10
	v_lshl_or_b32 v23, v12, 2, 0x210
	v_lshlrev_b32_e32 v10, 5, v14
	v_lshlrev_b32_e32 v6, 3, v6
	;; [unrolled: 1-line block ×5, first 2 shown]
	v_dual_mov_b32 v29, 1 :: v_dual_lshlrev_b32 v24, 3, v0
	s_delay_alu instid0(VALU_DEP_4) | instskip(SKIP_1) | instid1(VALU_DEP_4)
	v_or3_b32 v25, v6, v10, v12
	v_mov_b32_e32 v12, v11
	v_or3_b32 v26, v6, v15, v16
	v_cmp_gt_u32_e64 s1, 2, v0
	v_lshl_or_b32 v27, v0, 2, 0x200
	v_cmp_eq_u32_e64 s2, 0, v0
	s_mul_i32 s8, s11, s11
	v_cndmask_b32_e32 v28, v25, v26, vcc_lo
	v_max_i32_e32 v8, v14, v13
	v_dual_cndmask_b32 v0, v14, v13 :: v_dual_cndmask_b32 v15, v13, v14
	s_delay_alu instid0(VALU_DEP_2)
	v_cmp_gt_i32_e64 s0, s11, v8
	s_branch .LBB12_21
.LBB12_20:                              ;   in Loop: Header=BB12_21 Depth=1
	s_wait_alu 0xfffe
	s_or_b32 exec_lo, exec_lo, s3
	s_wait_loadcnt_dscnt 0x0
	s_barrier_signal -1
	s_barrier_wait -1
	global_inv scope:SCOPE_SE
	ds_load_b32 v8, v11 offset:512
	v_dual_mov_b32 v30, v6 :: v_dual_add_nc_u32 v9, 1, v9
	s_wait_dscnt 0x0
	v_cmp_gt_u32_e32 vcc_lo, 4, v8
	s_cbranch_vccz .LBB12_58
.LBB12_21:                              ; =>This Loop Header: Depth=1
                                        ;     Child Loop BB12_24 Depth 2
                                        ;     Child Loop BB12_39 Depth 2
	v_mov_b32_e32 v6, s10
	s_mov_b32 s9, exec_lo
	ds_store_b32 v23, v11
	ds_store_b64 v24, v[11:12]
	s_wait_loadcnt_dscnt 0x0
	s_barrier_signal -1
	s_barrier_wait -1
	global_inv scope:SCOPE_SE
	v_cmpx_lt_i32_e64 v5, v20
	s_cbranch_execz .LBB12_36
; %bb.22:                               ;   in Loop: Header=BB12_21 Depth=1
	v_mul_lo_u32 v8, s11, v5
	v_ashrrev_i32_e32 v6, 31, v5
	s_mov_b32 s24, 0
	s_delay_alu instid0(VALU_DEP_1) | instskip(SKIP_1) | instid1(VALU_DEP_4)
	v_lshlrev_b64_e32 v[31:32], 2, v[5:6]
	v_mov_b32_e32 v6, s10
	v_add_nc_u32_e32 v10, v13, v8
	v_add_nc_u32_e32 v8, v14, v8
	s_delay_alu instid0(VALU_DEP_2) | instskip(NEXT) | instid1(VALU_DEP_2)
	v_mad_co_u64_u32 v[16:17], null, s11, v10, v[14:15]
	v_mad_co_u64_u32 v[17:18], null, s11, v8, v[13:14]
	v_add_co_u32 v18, vcc_lo, s16, v31
	s_wait_alu 0xfffd
	v_add_co_ci_u32_e64 v19, null, s17, v32, vcc_lo
	v_mov_b32_e32 v8, 0
	s_branch .LBB12_24
.LBB12_23:                              ;   in Loop: Header=BB12_24 Depth=2
	s_or_b32 exec_lo, exec_lo, s25
	v_mov_b32_e32 v31, v5
	v_mov_b32_e32 v5, v10
	s_and_b32 s3, exec_lo, s26
	s_wait_alu 0xfffe
	s_or_b32 s24, s3, s24
	s_delay_alu instid0(SALU_CYCLE_1)
	s_and_not1_b32 exec_lo, exec_lo, s24
	s_cbranch_execz .LBB12_35
.LBB12_24:                              ;   Parent Loop BB12_21 Depth=1
                                        ; =>  This Inner Loop Header: Depth=2
	global_load_b32 v10, v[18:19], off
	s_wait_loadcnt 0x0
	v_subrev_nc_u32_e32 v10, s4, v10
	s_delay_alu instid0(VALU_DEP_1) | instskip(SKIP_1) | instid1(SALU_CYCLE_1)
	v_cmp_le_i32_e64 s3, v10, v30
	s_and_saveexec_b32 s25, s3
	s_xor_b32 s25, exec_lo, s25
	s_cbranch_execz .LBB12_31
; %bb.25:                               ;   in Loop: Header=BB12_24 Depth=2
	ds_store_b32 v23, v29
	s_and_saveexec_b32 s26, s0
	s_cbranch_execz .LBB12_30
; %bb.26:                               ;   in Loop: Header=BB12_24 Depth=2
	s_and_b32 vcc_lo, exec_lo, s7
	s_mov_b32 s27, -1
	s_wait_alu 0xfffe
	s_cbranch_vccz .LBB12_28
; %bb.27:                               ;   in Loop: Header=BB12_24 Depth=2
	v_add_nc_u32_e32 v31, v17, v8
	s_mov_b32 s27, 0
	s_delay_alu instid0(VALU_DEP_1) | instskip(NEXT) | instid1(VALU_DEP_1)
	v_ashrrev_i32_e32 v32, 31, v31
	v_lshlrev_b64_e32 v[31:32], 3, v[31:32]
	s_wait_kmcnt 0x0
	s_delay_alu instid0(VALU_DEP_1) | instskip(SKIP_1) | instid1(VALU_DEP_2)
	v_add_co_u32 v31, vcc_lo, s20, v31
	s_wait_alu 0xfffd
	v_add_co_ci_u32_e64 v32, null, s21, v32, vcc_lo
	global_load_b64 v[31:32], v[31:32], off
	s_wait_loadcnt 0x0
	v_mul_f64_e32 v[31:32], v[1:2], v[31:32]
	ds_store_b64 v25, v[31:32]
.LBB12_28:                              ;   in Loop: Header=BB12_24 Depth=2
	s_and_not1_b32 vcc_lo, exec_lo, s27
	s_wait_alu 0xfffe
	s_cbranch_vccnz .LBB12_30
; %bb.29:                               ;   in Loop: Header=BB12_24 Depth=2
	v_add_nc_u32_e32 v31, v16, v8
	s_delay_alu instid0(VALU_DEP_1) | instskip(NEXT) | instid1(VALU_DEP_1)
	v_ashrrev_i32_e32 v32, 31, v31
	v_lshlrev_b64_e32 v[31:32], 3, v[31:32]
	s_wait_kmcnt 0x0
	s_delay_alu instid0(VALU_DEP_1) | instskip(SKIP_1) | instid1(VALU_DEP_2)
	v_add_co_u32 v31, vcc_lo, s20, v31
	s_wait_alu 0xfffd
	v_add_co_ci_u32_e64 v32, null, s21, v32, vcc_lo
	global_load_b64 v[31:32], v[31:32], off
	s_wait_loadcnt 0x0
	v_mul_f64_e32 v[31:32], v[1:2], v[31:32]
	ds_store_b64 v26, v[31:32]
.LBB12_30:                              ;   in Loop: Header=BB12_24 Depth=2
	s_or_b32 exec_lo, exec_lo, s26
                                        ; implicit-def: $vgpr10
	s_and_not1_saveexec_b32 s25, s25
	s_branch .LBB12_32
.LBB12_31:                              ;   in Loop: Header=BB12_24 Depth=2
	s_and_not1_saveexec_b32 s25, s25
.LBB12_32:                              ;   in Loop: Header=BB12_24 Depth=2
	v_min_i32_e32 v6, v10, v6
; %bb.33:                               ;   in Loop: Header=BB12_24 Depth=2
	s_or_b32 exec_lo, exec_lo, s25
	s_mov_b32 s26, -1
                                        ; implicit-def: $vgpr10
	s_and_saveexec_b32 s25, s3
	s_cbranch_execz .LBB12_23
; %bb.34:                               ;   in Loop: Header=BB12_24 Depth=2
	v_dual_mov_b32 v5, v20 :: v_dual_add_nc_u32 v10, 1, v5
	v_add_co_u32 v18, s3, v18, 4
	s_wait_alu 0xfffe
	v_add_nc_u32_e32 v8, s8, v8
	s_delay_alu instid0(VALU_DEP_3)
	v_cmp_ge_i32_e32 vcc_lo, v10, v20
	s_wait_alu 0xf1ff
	v_add_co_ci_u32_e64 v19, null, 0, v19, s3
	s_or_not1_b32 s26, vcc_lo, exec_lo
	s_branch .LBB12_23
.LBB12_35:                              ;   in Loop: Header=BB12_21 Depth=1
	s_or_b32 exec_lo, exec_lo, s24
	v_mov_b32_e32 v5, v31
.LBB12_36:                              ;   in Loop: Header=BB12_21 Depth=1
	s_wait_alu 0xfffe
	s_or_b32 exec_lo, exec_lo, s9
	s_delay_alu instid0(SALU_CYCLE_1)
	s_mov_b32 s9, exec_lo
	s_wait_loadcnt_dscnt 0x0
	s_barrier_signal -1
	s_barrier_wait -1
	global_inv scope:SCOPE_SE
	v_cmpx_lt_i32_e64 v7, v21
	s_cbranch_execz .LBB12_51
; %bb.37:                               ;   in Loop: Header=BB12_21 Depth=1
	v_mul_lo_u32 v10, s11, v7
	v_ashrrev_i32_e32 v8, 31, v7
	s_mov_b32 s24, 0
	s_delay_alu instid0(VALU_DEP_1) | instskip(SKIP_1) | instid1(VALU_DEP_4)
	v_lshlrev_b64_e32 v[31:32], 2, v[7:8]
	v_mov_b32_e32 v8, 0
	v_add_nc_u32_e32 v16, v13, v10
	v_add_nc_u32_e32 v10, v14, v10
	s_delay_alu instid0(VALU_DEP_2) | instskip(NEXT) | instid1(VALU_DEP_2)
	v_mad_co_u64_u32 v[16:17], null, s11, v16, v[14:15]
	v_mad_co_u64_u32 v[17:18], null, s11, v10, v[13:14]
	v_add_co_u32 v18, vcc_lo, s18, v31
	s_wait_alu 0xfffd
	v_add_co_ci_u32_e64 v19, null, s19, v32, vcc_lo
	s_branch .LBB12_39
.LBB12_38:                              ;   in Loop: Header=BB12_39 Depth=2
	s_or_b32 exec_lo, exec_lo, s25
	v_mov_b32_e32 v31, v7
	v_mov_b32_e32 v7, v10
	s_and_b32 s3, exec_lo, s26
	s_wait_alu 0xfffe
	s_or_b32 s24, s3, s24
	s_delay_alu instid0(SALU_CYCLE_1)
	s_and_not1_b32 exec_lo, exec_lo, s24
	s_cbranch_execz .LBB12_50
.LBB12_39:                              ;   Parent Loop BB12_21 Depth=1
                                        ; =>  This Inner Loop Header: Depth=2
	global_load_b32 v10, v[18:19], off
	s_wait_loadcnt 0x0
	v_subrev_nc_u32_e32 v10, s5, v10
	s_delay_alu instid0(VALU_DEP_1) | instskip(SKIP_1) | instid1(SALU_CYCLE_1)
	v_cmp_le_i32_e64 s3, v10, v30
	s_and_saveexec_b32 s25, s3
	s_xor_b32 s25, exec_lo, s25
	s_cbranch_execz .LBB12_46
; %bb.40:                               ;   in Loop: Header=BB12_39 Depth=2
	ds_store_b32 v23, v29
	s_and_saveexec_b32 s26, s0
	s_cbranch_execz .LBB12_45
; %bb.41:                               ;   in Loop: Header=BB12_39 Depth=2
	s_and_b32 vcc_lo, exec_lo, s7
	s_mov_b32 s27, -1
	s_wait_alu 0xfffe
	s_cbranch_vccz .LBB12_43
; %bb.42:                               ;   in Loop: Header=BB12_39 Depth=2
	v_add_nc_u32_e32 v31, v17, v8
	ds_load_b64 v[33:34], v25
	s_mov_b32 s27, 0
	v_ashrrev_i32_e32 v32, 31, v31
	s_delay_alu instid0(VALU_DEP_1) | instskip(SKIP_1) | instid1(VALU_DEP_1)
	v_lshlrev_b64_e32 v[31:32], 3, v[31:32]
	s_wait_kmcnt 0x0
	v_add_co_u32 v31, vcc_lo, s22, v31
	s_wait_alu 0xfffd
	s_delay_alu instid0(VALU_DEP_2)
	v_add_co_ci_u32_e64 v32, null, s23, v32, vcc_lo
	global_load_b64 v[31:32], v[31:32], off
	s_wait_loadcnt_dscnt 0x0
	v_fma_f64 v[31:32], v[3:4], v[31:32], v[33:34]
	ds_store_b64 v25, v[31:32]
.LBB12_43:                              ;   in Loop: Header=BB12_39 Depth=2
	s_and_not1_b32 vcc_lo, exec_lo, s27
	s_wait_alu 0xfffe
	s_cbranch_vccnz .LBB12_45
; %bb.44:                               ;   in Loop: Header=BB12_39 Depth=2
	v_add_nc_u32_e32 v31, v16, v8
	ds_load_b64 v[33:34], v26
	v_ashrrev_i32_e32 v32, 31, v31
	s_delay_alu instid0(VALU_DEP_1) | instskip(SKIP_1) | instid1(VALU_DEP_1)
	v_lshlrev_b64_e32 v[31:32], 3, v[31:32]
	s_wait_kmcnt 0x0
	v_add_co_u32 v31, vcc_lo, s22, v31
	s_wait_alu 0xfffd
	s_delay_alu instid0(VALU_DEP_2)
	v_add_co_ci_u32_e64 v32, null, s23, v32, vcc_lo
	global_load_b64 v[31:32], v[31:32], off
	s_wait_loadcnt_dscnt 0x0
	v_fma_f64 v[31:32], v[3:4], v[31:32], v[33:34]
	ds_store_b64 v26, v[31:32]
.LBB12_45:                              ;   in Loop: Header=BB12_39 Depth=2
	s_or_b32 exec_lo, exec_lo, s26
                                        ; implicit-def: $vgpr10
	s_and_not1_saveexec_b32 s25, s25
	s_branch .LBB12_47
.LBB12_46:                              ;   in Loop: Header=BB12_39 Depth=2
	s_and_not1_saveexec_b32 s25, s25
.LBB12_47:                              ;   in Loop: Header=BB12_39 Depth=2
	v_min_i32_e32 v6, v10, v6
; %bb.48:                               ;   in Loop: Header=BB12_39 Depth=2
	s_or_b32 exec_lo, exec_lo, s25
	s_mov_b32 s26, -1
                                        ; implicit-def: $vgpr10
	s_and_saveexec_b32 s25, s3
	s_cbranch_execz .LBB12_38
; %bb.49:                               ;   in Loop: Header=BB12_39 Depth=2
	v_dual_mov_b32 v7, v21 :: v_dual_add_nc_u32 v10, 1, v7
	v_add_co_u32 v18, s3, v18, 4
	v_add_nc_u32_e32 v8, s8, v8
	s_delay_alu instid0(VALU_DEP_3)
	v_cmp_ge_i32_e32 vcc_lo, v10, v21
	s_wait_alu 0xf1ff
	v_add_co_ci_u32_e64 v19, null, 0, v19, s3
	s_or_not1_b32 s26, vcc_lo, exec_lo
	s_branch .LBB12_38
.LBB12_50:                              ;   in Loop: Header=BB12_21 Depth=1
	s_or_b32 exec_lo, exec_lo, s24
	v_mov_b32_e32 v7, v31
.LBB12_51:                              ;   in Loop: Header=BB12_21 Depth=1
	s_wait_alu 0xfffe
	s_or_b32 exec_lo, exec_lo, s9
	s_wait_loadcnt_dscnt 0x0
	s_barrier_signal -1
	s_barrier_wait -1
	global_inv scope:SCOPE_SE
	ds_load_b32 v8, v23
	s_mov_b32 s3, exec_lo
	s_wait_dscnt 0x0
	v_cmpx_ne_u32_e32 0, v8
	s_cbranch_execz .LBB12_54
; %bb.52:                               ;   in Loop: Header=BB12_21 Depth=1
	v_ashrrev_i32_e32 v10, 31, v9
	v_add_nc_u32_e32 v8, s6, v30
	s_delay_alu instid0(VALU_DEP_2) | instskip(SKIP_1) | instid1(VALU_DEP_1)
	v_lshlrev_b64_e32 v[16:17], 2, v[9:10]
	s_wait_kmcnt 0x0
	v_add_co_u32 v16, vcc_lo, s12, v16
	s_wait_alu 0xfffd
	s_delay_alu instid0(VALU_DEP_2)
	v_add_co_ci_u32_e64 v17, null, s13, v17, vcc_lo
	global_store_b32 v[16:17], v8, off
	s_and_b32 exec_lo, exec_lo, s0
	s_cbranch_execz .LBB12_54
; %bb.53:                               ;   in Loop: Header=BB12_21 Depth=1
	v_mad_co_u64_u32 v[16:17], null, v9, s11, v[0:1]
	ds_load_b64 v[18:19], v28
	v_mad_co_u64_u32 v[16:17], null, v16, s11, v[15:16]
	s_delay_alu instid0(VALU_DEP_1) | instskip(NEXT) | instid1(VALU_DEP_1)
	v_ashrrev_i32_e32 v17, 31, v16
	v_lshlrev_b64_e32 v[16:17], 3, v[16:17]
	s_delay_alu instid0(VALU_DEP_1) | instskip(SKIP_1) | instid1(VALU_DEP_2)
	v_add_co_u32 v16, vcc_lo, s14, v16
	s_wait_alu 0xfffd
	v_add_co_ci_u32_e64 v17, null, s15, v17, vcc_lo
	s_wait_dscnt 0x0
	global_store_b64 v[16:17], v[18:19], off
.LBB12_54:                              ;   in Loop: Header=BB12_21 Depth=1
	s_wait_alu 0xfffe
	s_or_b32 exec_lo, exec_lo, s3
	v_cmp_le_i32_e32 vcc_lo, s10, v6
	s_wait_loadcnt 0x0
	s_wait_storecnt 0x0
	s_barrier_signal -1
	s_barrier_wait -1
	global_inv scope:SCOPE_SE
	s_wait_alu 0xfffd
	v_cndmask_b32_e64 v8, 0, 1, vcc_lo
	s_wait_loadcnt 0x0
	s_barrier_signal -1
	s_barrier_wait -1
	global_inv scope:SCOPE_SE
	ds_store_b32 v22, v8
	s_wait_loadcnt_dscnt 0x0
	s_barrier_signal -1
	s_barrier_wait -1
	global_inv scope:SCOPE_SE
	s_and_saveexec_b32 s3, s1
	s_cbranch_execz .LBB12_56
; %bb.55:                               ;   in Loop: Header=BB12_21 Depth=1
	ds_load_2addr_b32 v[16:17], v27 offset1:2
	s_wait_dscnt 0x0
	v_add_nc_u32_e32 v8, v17, v16
	ds_store_b32 v27, v8
.LBB12_56:                              ;   in Loop: Header=BB12_21 Depth=1
	s_wait_alu 0xfffe
	s_or_b32 exec_lo, exec_lo, s3
	s_wait_loadcnt_dscnt 0x0
	s_barrier_signal -1
	s_barrier_wait -1
	global_inv scope:SCOPE_SE
	s_and_saveexec_b32 s3, s2
	s_cbranch_execz .LBB12_20
; %bb.57:                               ;   in Loop: Header=BB12_21 Depth=1
	ds_load_b64 v[16:17], v11 offset:512
	s_wait_dscnt 0x0
	v_add_nc_u32_e32 v8, v17, v16
	ds_store_b32 v11, v8 offset:512
	s_branch .LBB12_20
.LBB12_58:
	s_endpgm
	.section	.rodata,"a",@progbits
	.p2align	6, 0x0
	.amdhsa_kernel _ZN9rocsparseL35bsrgeam_wf_per_row_multipass_kernelILj64ELj4EdEEv20rocsparse_direction_iiiNS_24const_host_device_scalarIT1_EEPKiS6_PKS3_S4_S6_S6_S8_S6_PiPS3_21rocsparse_index_base_SB_SB_b
		.amdhsa_group_segment_fixed_size 544
		.amdhsa_private_segment_fixed_size 0
		.amdhsa_kernarg_size 120
		.amdhsa_user_sgpr_count 2
		.amdhsa_user_sgpr_dispatch_ptr 0
		.amdhsa_user_sgpr_queue_ptr 0
		.amdhsa_user_sgpr_kernarg_segment_ptr 1
		.amdhsa_user_sgpr_dispatch_id 0
		.amdhsa_user_sgpr_private_segment_size 0
		.amdhsa_wavefront_size32 1
		.amdhsa_uses_dynamic_stack 0
		.amdhsa_enable_private_segment 0
		.amdhsa_system_sgpr_workgroup_id_x 1
		.amdhsa_system_sgpr_workgroup_id_y 0
		.amdhsa_system_sgpr_workgroup_id_z 0
		.amdhsa_system_sgpr_workgroup_info 0
		.amdhsa_system_vgpr_workitem_id 0
		.amdhsa_next_free_vgpr 35
		.amdhsa_next_free_sgpr 28
		.amdhsa_reserve_vcc 1
		.amdhsa_float_round_mode_32 0
		.amdhsa_float_round_mode_16_64 0
		.amdhsa_float_denorm_mode_32 3
		.amdhsa_float_denorm_mode_16_64 3
		.amdhsa_fp16_overflow 0
		.amdhsa_workgroup_processor_mode 1
		.amdhsa_memory_ordered 1
		.amdhsa_forward_progress 1
		.amdhsa_inst_pref_size 20
		.amdhsa_round_robin_scheduling 0
		.amdhsa_exception_fp_ieee_invalid_op 0
		.amdhsa_exception_fp_denorm_src 0
		.amdhsa_exception_fp_ieee_div_zero 0
		.amdhsa_exception_fp_ieee_overflow 0
		.amdhsa_exception_fp_ieee_underflow 0
		.amdhsa_exception_fp_ieee_inexact 0
		.amdhsa_exception_int_div_zero 0
	.end_amdhsa_kernel
	.section	.text._ZN9rocsparseL35bsrgeam_wf_per_row_multipass_kernelILj64ELj4EdEEv20rocsparse_direction_iiiNS_24const_host_device_scalarIT1_EEPKiS6_PKS3_S4_S6_S6_S8_S6_PiPS3_21rocsparse_index_base_SB_SB_b,"axG",@progbits,_ZN9rocsparseL35bsrgeam_wf_per_row_multipass_kernelILj64ELj4EdEEv20rocsparse_direction_iiiNS_24const_host_device_scalarIT1_EEPKiS6_PKS3_S4_S6_S6_S8_S6_PiPS3_21rocsparse_index_base_SB_SB_b,comdat
.Lfunc_end12:
	.size	_ZN9rocsparseL35bsrgeam_wf_per_row_multipass_kernelILj64ELj4EdEEv20rocsparse_direction_iiiNS_24const_host_device_scalarIT1_EEPKiS6_PKS3_S4_S6_S6_S8_S6_PiPS3_21rocsparse_index_base_SB_SB_b, .Lfunc_end12-_ZN9rocsparseL35bsrgeam_wf_per_row_multipass_kernelILj64ELj4EdEEv20rocsparse_direction_iiiNS_24const_host_device_scalarIT1_EEPKiS6_PKS3_S4_S6_S6_S8_S6_PiPS3_21rocsparse_index_base_SB_SB_b
                                        ; -- End function
	.set _ZN9rocsparseL35bsrgeam_wf_per_row_multipass_kernelILj64ELj4EdEEv20rocsparse_direction_iiiNS_24const_host_device_scalarIT1_EEPKiS6_PKS3_S4_S6_S6_S8_S6_PiPS3_21rocsparse_index_base_SB_SB_b.num_vgpr, 35
	.set _ZN9rocsparseL35bsrgeam_wf_per_row_multipass_kernelILj64ELj4EdEEv20rocsparse_direction_iiiNS_24const_host_device_scalarIT1_EEPKiS6_PKS3_S4_S6_S6_S8_S6_PiPS3_21rocsparse_index_base_SB_SB_b.num_agpr, 0
	.set _ZN9rocsparseL35bsrgeam_wf_per_row_multipass_kernelILj64ELj4EdEEv20rocsparse_direction_iiiNS_24const_host_device_scalarIT1_EEPKiS6_PKS3_S4_S6_S6_S8_S6_PiPS3_21rocsparse_index_base_SB_SB_b.numbered_sgpr, 28
	.set _ZN9rocsparseL35bsrgeam_wf_per_row_multipass_kernelILj64ELj4EdEEv20rocsparse_direction_iiiNS_24const_host_device_scalarIT1_EEPKiS6_PKS3_S4_S6_S6_S8_S6_PiPS3_21rocsparse_index_base_SB_SB_b.num_named_barrier, 0
	.set _ZN9rocsparseL35bsrgeam_wf_per_row_multipass_kernelILj64ELj4EdEEv20rocsparse_direction_iiiNS_24const_host_device_scalarIT1_EEPKiS6_PKS3_S4_S6_S6_S8_S6_PiPS3_21rocsparse_index_base_SB_SB_b.private_seg_size, 0
	.set _ZN9rocsparseL35bsrgeam_wf_per_row_multipass_kernelILj64ELj4EdEEv20rocsparse_direction_iiiNS_24const_host_device_scalarIT1_EEPKiS6_PKS3_S4_S6_S6_S8_S6_PiPS3_21rocsparse_index_base_SB_SB_b.uses_vcc, 1
	.set _ZN9rocsparseL35bsrgeam_wf_per_row_multipass_kernelILj64ELj4EdEEv20rocsparse_direction_iiiNS_24const_host_device_scalarIT1_EEPKiS6_PKS3_S4_S6_S6_S8_S6_PiPS3_21rocsparse_index_base_SB_SB_b.uses_flat_scratch, 0
	.set _ZN9rocsparseL35bsrgeam_wf_per_row_multipass_kernelILj64ELj4EdEEv20rocsparse_direction_iiiNS_24const_host_device_scalarIT1_EEPKiS6_PKS3_S4_S6_S6_S8_S6_PiPS3_21rocsparse_index_base_SB_SB_b.has_dyn_sized_stack, 0
	.set _ZN9rocsparseL35bsrgeam_wf_per_row_multipass_kernelILj64ELj4EdEEv20rocsparse_direction_iiiNS_24const_host_device_scalarIT1_EEPKiS6_PKS3_S4_S6_S6_S8_S6_PiPS3_21rocsparse_index_base_SB_SB_b.has_recursion, 0
	.set _ZN9rocsparseL35bsrgeam_wf_per_row_multipass_kernelILj64ELj4EdEEv20rocsparse_direction_iiiNS_24const_host_device_scalarIT1_EEPKiS6_PKS3_S4_S6_S6_S8_S6_PiPS3_21rocsparse_index_base_SB_SB_b.has_indirect_call, 0
	.section	.AMDGPU.csdata,"",@progbits
; Kernel info:
; codeLenInByte = 2488
; TotalNumSgprs: 30
; NumVgprs: 35
; ScratchSize: 0
; MemoryBound: 0
; FloatMode: 240
; IeeeMode: 1
; LDSByteSize: 544 bytes/workgroup (compile time only)
; SGPRBlocks: 0
; VGPRBlocks: 4
; NumSGPRsForWavesPerEU: 30
; NumVGPRsForWavesPerEU: 35
; Occupancy: 16
; WaveLimiterHint : 1
; COMPUTE_PGM_RSRC2:SCRATCH_EN: 0
; COMPUTE_PGM_RSRC2:USER_SGPR: 2
; COMPUTE_PGM_RSRC2:TRAP_HANDLER: 0
; COMPUTE_PGM_RSRC2:TGID_X_EN: 1
; COMPUTE_PGM_RSRC2:TGID_Y_EN: 0
; COMPUTE_PGM_RSRC2:TGID_Z_EN: 0
; COMPUTE_PGM_RSRC2:TIDIG_COMP_CNT: 0
	.section	.text._ZN9rocsparseL35bsrgeam_wf_per_row_multipass_kernelILj64ELj8EdEEv20rocsparse_direction_iiiNS_24const_host_device_scalarIT1_EEPKiS6_PKS3_S4_S6_S6_S8_S6_PiPS3_21rocsparse_index_base_SB_SB_b,"axG",@progbits,_ZN9rocsparseL35bsrgeam_wf_per_row_multipass_kernelILj64ELj8EdEEv20rocsparse_direction_iiiNS_24const_host_device_scalarIT1_EEPKiS6_PKS3_S4_S6_S6_S8_S6_PiPS3_21rocsparse_index_base_SB_SB_b,comdat
	.globl	_ZN9rocsparseL35bsrgeam_wf_per_row_multipass_kernelILj64ELj8EdEEv20rocsparse_direction_iiiNS_24const_host_device_scalarIT1_EEPKiS6_PKS3_S4_S6_S6_S8_S6_PiPS3_21rocsparse_index_base_SB_SB_b ; -- Begin function _ZN9rocsparseL35bsrgeam_wf_per_row_multipass_kernelILj64ELj8EdEEv20rocsparse_direction_iiiNS_24const_host_device_scalarIT1_EEPKiS6_PKS3_S4_S6_S6_S8_S6_PiPS3_21rocsparse_index_base_SB_SB_b
	.p2align	8
	.type	_ZN9rocsparseL35bsrgeam_wf_per_row_multipass_kernelILj64ELj8EdEEv20rocsparse_direction_iiiNS_24const_host_device_scalarIT1_EEPKiS6_PKS3_S4_S6_S6_S8_S6_PiPS3_21rocsparse_index_base_SB_SB_b,@function
_ZN9rocsparseL35bsrgeam_wf_per_row_multipass_kernelILj64ELj8EdEEv20rocsparse_direction_iiiNS_24const_host_device_scalarIT1_EEPKiS6_PKS3_S4_S6_S6_S8_S6_PiPS3_21rocsparse_index_base_SB_SB_b: ; @_ZN9rocsparseL35bsrgeam_wf_per_row_multipass_kernelILj64ELj8EdEEv20rocsparse_direction_iiiNS_24const_host_device_scalarIT1_EEPKiS6_PKS3_S4_S6_S6_S8_S6_PiPS3_21rocsparse_index_base_SB_SB_b
; %bb.0:
	s_clause 0x2
	s_load_b128 s[4:7], s[0:1], 0x68
	s_load_b64 s[2:3], s[0:1], 0x10
	s_load_b64 s[8:9], s[0:1], 0x30
	s_wait_kmcnt 0x0
	s_bitcmp1_b32 s7, 0
	v_dual_mov_b32 v1, s2 :: v_dual_mov_b32 v2, s3
	s_cselect_b32 s7, -1, 0
	s_delay_alu instid0(SALU_CYCLE_1)
	s_and_b32 vcc_lo, exec_lo, s7
	s_xor_b32 s7, s7, -1
	s_cbranch_vccnz .LBB13_2
; %bb.1:
	v_dual_mov_b32 v1, s2 :: v_dual_mov_b32 v2, s3
	flat_load_b64 v[1:2], v[1:2]
.LBB13_2:
	s_load_b64 s[2:3], s[0:1], 0x18
	v_dual_mov_b32 v3, s8 :: v_dual_mov_b32 v4, s9
	s_and_not1_b32 vcc_lo, exec_lo, s7
	s_cbranch_vccnz .LBB13_4
; %bb.3:
	v_dual_mov_b32 v3, s8 :: v_dual_mov_b32 v4, s9
	flat_load_b64 v[3:4], v[3:4]
.LBB13_4:
	s_load_b128 s[8:11], s[0:1], 0x0
	v_dual_mov_b32 v8, ttmp9 :: v_dual_mov_b32 v5, 0
	v_mov_b32_e32 v20, 0
	s_wait_kmcnt 0x0
	s_cmp_ge_i32 ttmp9, s9
	s_cselect_b32 s7, -1, 0
	s_cmp_lt_i32 ttmp9, s9
	s_cselect_b32 s9, -1, 0
	s_wait_alu 0xfffe
	s_and_saveexec_b32 s12, s9
	s_cbranch_execz .LBB13_6
; %bb.5:
	v_ashrrev_i32_e64 v9, 31, ttmp9
	s_delay_alu instid0(VALU_DEP_1) | instskip(NEXT) | instid1(VALU_DEP_1)
	v_lshlrev_b64_e32 v[5:6], 2, v[8:9]
	v_add_co_u32 v5, vcc_lo, s2, v5
	s_delay_alu instid0(VALU_DEP_1)
	v_add_co_ci_u32_e64 v6, null, s3, v6, vcc_lo
	global_load_b32 v5, v[5:6], off
	s_wait_loadcnt 0x0
	v_subrev_nc_u32_e32 v5, s4, v5
.LBB13_6:
	s_or_b32 exec_lo, exec_lo, s12
	s_load_b64 s[12:13], s[0:1], 0x38
	s_and_saveexec_b32 s14, s9
	s_cbranch_execz .LBB13_8
; %bb.7:
	v_ashrrev_i32_e64 v9, 31, ttmp9
	s_delay_alu instid0(VALU_DEP_1) | instskip(NEXT) | instid1(VALU_DEP_1)
	v_lshlrev_b64_e32 v[6:7], 2, v[8:9]
	v_add_co_u32 v6, vcc_lo, s2, v6
	s_wait_alu 0xfffd
	s_delay_alu instid0(VALU_DEP_2)
	v_add_co_ci_u32_e64 v7, null, s3, v7, vcc_lo
	global_load_b32 v6, v[6:7], off offset:4
	s_wait_loadcnt 0x0
	v_subrev_nc_u32_e32 v20, s4, v6
.LBB13_8:
	s_or_b32 exec_lo, exec_lo, s14
	v_mov_b32_e32 v21, 0
	v_mov_b32_e32 v7, 0
	s_and_saveexec_b32 s2, s9
	s_cbranch_execz .LBB13_10
; %bb.9:
	v_ashrrev_i32_e64 v9, 31, ttmp9
	s_delay_alu instid0(VALU_DEP_1) | instskip(SKIP_1) | instid1(VALU_DEP_1)
	v_lshlrev_b64_e32 v[6:7], 2, v[8:9]
	s_wait_kmcnt 0x0
	v_add_co_u32 v6, vcc_lo, s12, v6
	s_wait_alu 0xfffd
	s_delay_alu instid0(VALU_DEP_2)
	v_add_co_ci_u32_e64 v7, null, s13, v7, vcc_lo
	global_load_b32 v6, v[6:7], off
	s_wait_loadcnt 0x0
	v_subrev_nc_u32_e32 v7, s5, v6
.LBB13_10:
	s_wait_alu 0xfffe
	s_or_b32 exec_lo, exec_lo, s2
	s_and_saveexec_b32 s2, s9
	s_cbranch_execz .LBB13_12
; %bb.11:
	v_ashrrev_i32_e64 v9, 31, ttmp9
	s_delay_alu instid0(VALU_DEP_1) | instskip(SKIP_1) | instid1(VALU_DEP_1)
	v_lshlrev_b64_e32 v[9:10], 2, v[8:9]
	s_wait_kmcnt 0x0
	v_add_co_u32 v9, vcc_lo, s12, v9
	s_wait_alu 0xfffd
	s_delay_alu instid0(VALU_DEP_2)
	v_add_co_ci_u32_e64 v10, null, s13, v10, vcc_lo
	global_load_b32 v6, v[9:10], off offset:4
	s_wait_loadcnt 0x0
	v_subrev_nc_u32_e32 v21, s5, v6
.LBB13_12:
	s_wait_alu 0xfffe
	s_or_b32 exec_lo, exec_lo, s2
	s_load_b64 s[2:3], s[0:1], 0x20
	v_mov_b32_e32 v9, 0
	s_wait_kmcnt 0x0
	s_and_saveexec_b32 s12, s9
	s_cbranch_execz .LBB13_14
; %bb.13:
	s_load_b64 s[14:15], s[0:1], 0x50
	v_ashrrev_i32_e64 v9, 31, ttmp9
	s_delay_alu instid0(VALU_DEP_1) | instskip(SKIP_1) | instid1(VALU_DEP_1)
	v_lshlrev_b64_e32 v[8:9], 2, v[8:9]
	s_wait_kmcnt 0x0
	v_add_co_u32 v8, vcc_lo, s14, v8
	s_wait_alu 0xfffd
	s_delay_alu instid0(VALU_DEP_2)
	v_add_co_ci_u32_e64 v9, null, s15, v9, vcc_lo
	global_load_b32 v6, v[8:9], off
	s_wait_loadcnt 0x0
	v_subrev_nc_u32_e32 v9, s6, v6
.LBB13_14:
	s_wait_alu 0xfffe
	s_or_b32 exec_lo, exec_lo, s12
	s_load_b64 s[16:17], s[0:1], 0x40
	v_mov_b32_e32 v6, s10
	s_mov_b32 s9, exec_lo
	v_cmpx_lt_i32_e64 v5, v20
	s_cbranch_execz .LBB13_16
; %bb.15:
	v_ashrrev_i32_e32 v6, 31, v5
	s_delay_alu instid0(VALU_DEP_1) | instskip(NEXT) | instid1(VALU_DEP_1)
	v_lshlrev_b64_e32 v[10:11], 2, v[5:6]
	v_add_co_u32 v10, vcc_lo, s2, v10
	s_wait_alu 0xfffd
	s_delay_alu instid0(VALU_DEP_2)
	v_add_co_ci_u32_e64 v11, null, s3, v11, vcc_lo
	global_load_b32 v6, v[10:11], off
	s_wait_loadcnt 0x0
	v_subrev_nc_u32_e32 v6, s4, v6
.LBB13_16:
	s_wait_alu 0xfffe
	s_or_b32 exec_lo, exec_lo, s9
	v_mov_b32_e32 v8, s10
	s_mov_b32 s9, exec_lo
	v_cmpx_lt_i32_e64 v7, v21
	s_cbranch_execz .LBB13_18
; %bb.17:
	v_ashrrev_i32_e32 v8, 31, v7
	s_delay_alu instid0(VALU_DEP_1) | instskip(SKIP_1) | instid1(VALU_DEP_1)
	v_lshlrev_b64_e32 v[10:11], 2, v[7:8]
	s_wait_kmcnt 0x0
	v_add_co_u32 v10, vcc_lo, s16, v10
	s_wait_alu 0xfffd
	s_delay_alu instid0(VALU_DEP_2)
	v_add_co_ci_u32_e64 v11, null, s17, v11, vcc_lo
	global_load_b32 v8, v[10:11], off
	s_wait_loadcnt 0x0
	v_subrev_nc_u32_e32 v8, s5, v8
.LBB13_18:
	s_wait_alu 0xfffe
	s_or_b32 exec_lo, exec_lo, s9
	v_cndmask_b32_e64 v10, 0, 1, s7
	v_mov_b32_e32 v11, 0
	ds_store_b32 v11, v10 offset:512
	s_wait_loadcnt_dscnt 0x0
	s_barrier_signal -1
	s_barrier_wait -1
	global_inv scope:SCOPE_SE
	ds_load_b32 v10, v11 offset:512
	s_wait_dscnt 0x0
	v_cmp_ne_u32_e32 vcc_lo, 0, v10
	s_cbranch_vccz .LBB13_20
.LBB13_19:
	s_endpgm
.LBB13_20:
	v_dual_mov_b32 v22, 0x200 :: v_dual_and_b32 v13, 7, v0
	s_cmp_lg_u32 s8, 0
	s_clause 0x2
	s_load_b128 s[12:15], s[0:1], 0x58
	s_load_b64 s[18:19], s[0:1], 0x28
	s_load_b64 s[20:21], s[0:1], 0x48
	s_cselect_b32 s7, -1, 0
	s_cmp_eq_u32 s8, 0
	v_lshrrev_b32_e32 v14, 3, v0
	v_min_i32_e32 v6, v8, v6
	s_cselect_b32 vcc_lo, -1, 0
	v_dual_mov_b32 v23, 0x204 :: v_dual_lshlrev_b32 v8, 3, v13
	s_wait_alu 0xfffe
	v_dual_cndmask_b32 v15, v13, v14 :: v_dual_lshlrev_b32 v24, 3, v0
	v_max_i32_e32 v10, v14, v13
	s_delay_alu instid0(VALU_DEP_3)
	v_lshl_or_b32 v25, v14, 6, v8
	v_and_b32_e32 v0, 56, v0
	v_mov_b32_e32 v12, v11
	v_mov_b32_e32 v28, 1
	v_cmp_gt_i32_e64 s0, s11, v10
	s_mul_i32 s8, s11, s11
	v_lshl_or_b32 v26, v13, 6, v0
	s_delay_alu instid0(VALU_DEP_1)
	v_dual_cndmask_b32 v0, v14, v13 :: v_dual_cndmask_b32 v27, v25, v26
	s_branch .LBB13_22
.LBB13_21:                              ;   in Loop: Header=BB13_22 Depth=1
	s_wait_alu 0xfffe
	s_or_b32 exec_lo, exec_lo, s1
	v_cmp_le_i32_e32 vcc_lo, s10, v6
	s_wait_loadcnt 0x0
	s_wait_storecnt 0x0
	s_barrier_signal -1
	s_barrier_wait -1
	global_inv scope:SCOPE_SE
	s_wait_alu 0xfffd
	v_cndmask_b32_e64 v8, 0, 1, vcc_lo
	s_wait_loadcnt 0x0
	s_barrier_signal -1
	s_barrier_wait -1
	global_inv scope:SCOPE_SE
	ds_store_b32 v22, v8
	s_wait_loadcnt_dscnt 0x0
	s_barrier_signal -1
	s_barrier_wait -1
	global_inv scope:SCOPE_SE
	ds_load_b32 v8, v11 offset:512
	v_add_nc_u32_e32 v9, 1, v9
	s_wait_dscnt 0x0
	v_cmp_eq_u32_e32 vcc_lo, 0, v8
	s_cbranch_vccz .LBB13_19
.LBB13_22:                              ; =>This Loop Header: Depth=1
                                        ;     Child Loop BB13_25 Depth 2
                                        ;     Child Loop BB13_40 Depth 2
	v_dual_mov_b32 v29, v6 :: v_dual_mov_b32 v6, s10
	s_mov_b32 s9, exec_lo
	ds_store_b32 v23, v11
	ds_store_b64 v24, v[11:12]
	s_wait_loadcnt_dscnt 0x0
	s_barrier_signal -1
	s_barrier_wait -1
	global_inv scope:SCOPE_SE
	v_cmpx_lt_i32_e64 v5, v20
	s_cbranch_execz .LBB13_37
; %bb.23:                               ;   in Loop: Header=BB13_22 Depth=1
	v_mul_lo_u32 v8, s11, v5
	v_ashrrev_i32_e32 v6, 31, v5
	s_mov_b32 s22, 0
	s_delay_alu instid0(VALU_DEP_1) | instskip(SKIP_1) | instid1(VALU_DEP_4)
	v_lshlrev_b64_e32 v[30:31], 2, v[5:6]
	v_mov_b32_e32 v6, s10
	v_add_nc_u32_e32 v10, v13, v8
	v_add_nc_u32_e32 v8, v14, v8
	s_delay_alu instid0(VALU_DEP_2) | instskip(NEXT) | instid1(VALU_DEP_2)
	v_mad_co_u64_u32 v[16:17], null, s11, v10, v[14:15]
	v_mad_co_u64_u32 v[17:18], null, s11, v8, v[13:14]
	v_add_co_u32 v18, vcc_lo, s2, v30
	s_wait_alu 0xfffd
	v_add_co_ci_u32_e64 v19, null, s3, v31, vcc_lo
	v_mov_b32_e32 v8, 0
	s_branch .LBB13_25
.LBB13_24:                              ;   in Loop: Header=BB13_25 Depth=2
	s_or_b32 exec_lo, exec_lo, s23
	v_dual_mov_b32 v30, v5 :: v_dual_mov_b32 v5, v10
	s_and_b32 s1, exec_lo, s24
	s_wait_alu 0xfffe
	s_or_b32 s22, s1, s22
	s_delay_alu instid0(SALU_CYCLE_1)
	s_and_not1_b32 exec_lo, exec_lo, s22
	s_cbranch_execz .LBB13_36
.LBB13_25:                              ;   Parent Loop BB13_22 Depth=1
                                        ; =>  This Inner Loop Header: Depth=2
	global_load_b32 v10, v[18:19], off
	s_wait_loadcnt 0x0
	v_subrev_nc_u32_e32 v10, s4, v10
	s_delay_alu instid0(VALU_DEP_1) | instskip(SKIP_1) | instid1(SALU_CYCLE_1)
	v_cmp_le_i32_e64 s1, v10, v29
	s_and_saveexec_b32 s23, s1
	s_xor_b32 s23, exec_lo, s23
	s_cbranch_execz .LBB13_32
; %bb.26:                               ;   in Loop: Header=BB13_25 Depth=2
	ds_store_b32 v23, v28
	s_and_saveexec_b32 s24, s0
	s_cbranch_execz .LBB13_31
; %bb.27:                               ;   in Loop: Header=BB13_25 Depth=2
	s_and_b32 vcc_lo, exec_lo, s7
	s_mov_b32 s25, -1
	s_wait_alu 0xfffe
	s_cbranch_vccz .LBB13_29
; %bb.28:                               ;   in Loop: Header=BB13_25 Depth=2
	v_add_nc_u32_e32 v30, v17, v8
	s_mov_b32 s25, 0
	s_delay_alu instid0(VALU_DEP_1) | instskip(NEXT) | instid1(VALU_DEP_1)
	v_ashrrev_i32_e32 v31, 31, v30
	v_lshlrev_b64_e32 v[30:31], 3, v[30:31]
	s_wait_kmcnt 0x0
	s_delay_alu instid0(VALU_DEP_1) | instskip(SKIP_1) | instid1(VALU_DEP_2)
	v_add_co_u32 v30, vcc_lo, s18, v30
	s_wait_alu 0xfffd
	v_add_co_ci_u32_e64 v31, null, s19, v31, vcc_lo
	global_load_b64 v[30:31], v[30:31], off
	s_wait_loadcnt 0x0
	v_mul_f64_e32 v[30:31], v[1:2], v[30:31]
	ds_store_b64 v25, v[30:31]
.LBB13_29:                              ;   in Loop: Header=BB13_25 Depth=2
	s_and_not1_b32 vcc_lo, exec_lo, s25
	s_wait_alu 0xfffe
	s_cbranch_vccnz .LBB13_31
; %bb.30:                               ;   in Loop: Header=BB13_25 Depth=2
	v_add_nc_u32_e32 v30, v16, v8
	s_delay_alu instid0(VALU_DEP_1) | instskip(NEXT) | instid1(VALU_DEP_1)
	v_ashrrev_i32_e32 v31, 31, v30
	v_lshlrev_b64_e32 v[30:31], 3, v[30:31]
	s_wait_kmcnt 0x0
	s_delay_alu instid0(VALU_DEP_1) | instskip(SKIP_1) | instid1(VALU_DEP_2)
	v_add_co_u32 v30, vcc_lo, s18, v30
	s_wait_alu 0xfffd
	v_add_co_ci_u32_e64 v31, null, s19, v31, vcc_lo
	global_load_b64 v[30:31], v[30:31], off
	s_wait_loadcnt 0x0
	v_mul_f64_e32 v[30:31], v[1:2], v[30:31]
	ds_store_b64 v26, v[30:31]
.LBB13_31:                              ;   in Loop: Header=BB13_25 Depth=2
	s_or_b32 exec_lo, exec_lo, s24
                                        ; implicit-def: $vgpr10
	s_and_not1_saveexec_b32 s23, s23
	s_branch .LBB13_33
.LBB13_32:                              ;   in Loop: Header=BB13_25 Depth=2
	s_and_not1_saveexec_b32 s23, s23
.LBB13_33:                              ;   in Loop: Header=BB13_25 Depth=2
	v_min_i32_e32 v6, v10, v6
; %bb.34:                               ;   in Loop: Header=BB13_25 Depth=2
	s_or_b32 exec_lo, exec_lo, s23
	s_mov_b32 s24, -1
                                        ; implicit-def: $vgpr10
	s_and_saveexec_b32 s23, s1
	s_cbranch_execz .LBB13_24
; %bb.35:                               ;   in Loop: Header=BB13_25 Depth=2
	v_dual_mov_b32 v5, v20 :: v_dual_add_nc_u32 v10, 1, v5
	v_add_co_u32 v18, s1, v18, 4
	s_wait_alu 0xfffe
	v_add_nc_u32_e32 v8, s8, v8
	s_delay_alu instid0(VALU_DEP_3)
	v_cmp_ge_i32_e32 vcc_lo, v10, v20
	s_wait_alu 0xf1ff
	v_add_co_ci_u32_e64 v19, null, 0, v19, s1
	s_or_not1_b32 s24, vcc_lo, exec_lo
	s_branch .LBB13_24
.LBB13_36:                              ;   in Loop: Header=BB13_22 Depth=1
	s_or_b32 exec_lo, exec_lo, s22
	v_mov_b32_e32 v5, v30
.LBB13_37:                              ;   in Loop: Header=BB13_22 Depth=1
	s_wait_alu 0xfffe
	s_or_b32 exec_lo, exec_lo, s9
	s_delay_alu instid0(SALU_CYCLE_1)
	s_mov_b32 s9, exec_lo
	s_wait_loadcnt_dscnt 0x0
	s_barrier_signal -1
	s_barrier_wait -1
	global_inv scope:SCOPE_SE
	v_cmpx_lt_i32_e64 v7, v21
	s_cbranch_execz .LBB13_52
; %bb.38:                               ;   in Loop: Header=BB13_22 Depth=1
	v_mul_lo_u32 v10, s11, v7
	v_ashrrev_i32_e32 v8, 31, v7
	s_mov_b32 s22, 0
	s_delay_alu instid0(VALU_DEP_1) | instskip(SKIP_1) | instid1(VALU_DEP_4)
	v_lshlrev_b64_e32 v[30:31], 2, v[7:8]
	v_mov_b32_e32 v8, 0
	v_add_nc_u32_e32 v16, v13, v10
	v_add_nc_u32_e32 v10, v14, v10
	s_delay_alu instid0(VALU_DEP_2) | instskip(NEXT) | instid1(VALU_DEP_2)
	v_mad_co_u64_u32 v[16:17], null, s11, v16, v[14:15]
	v_mad_co_u64_u32 v[17:18], null, s11, v10, v[13:14]
	s_wait_kmcnt 0x0
	v_add_co_u32 v18, vcc_lo, s16, v30
	s_wait_alu 0xfffd
	v_add_co_ci_u32_e64 v19, null, s17, v31, vcc_lo
	s_branch .LBB13_40
.LBB13_39:                              ;   in Loop: Header=BB13_40 Depth=2
	s_or_b32 exec_lo, exec_lo, s23
	v_dual_mov_b32 v30, v7 :: v_dual_mov_b32 v7, v10
	s_and_b32 s1, exec_lo, s24
	s_wait_alu 0xfffe
	s_or_b32 s22, s1, s22
	s_delay_alu instid0(SALU_CYCLE_1)
	s_and_not1_b32 exec_lo, exec_lo, s22
	s_cbranch_execz .LBB13_51
.LBB13_40:                              ;   Parent Loop BB13_22 Depth=1
                                        ; =>  This Inner Loop Header: Depth=2
	global_load_b32 v10, v[18:19], off
	s_wait_loadcnt 0x0
	v_subrev_nc_u32_e32 v10, s5, v10
	s_delay_alu instid0(VALU_DEP_1) | instskip(SKIP_1) | instid1(SALU_CYCLE_1)
	v_cmp_le_i32_e64 s1, v10, v29
	s_and_saveexec_b32 s23, s1
	s_xor_b32 s23, exec_lo, s23
	s_cbranch_execz .LBB13_47
; %bb.41:                               ;   in Loop: Header=BB13_40 Depth=2
	ds_store_b32 v23, v28
	s_and_saveexec_b32 s24, s0
	s_cbranch_execz .LBB13_46
; %bb.42:                               ;   in Loop: Header=BB13_40 Depth=2
	s_and_b32 vcc_lo, exec_lo, s7
	s_mov_b32 s25, -1
	s_wait_alu 0xfffe
	s_cbranch_vccz .LBB13_44
; %bb.43:                               ;   in Loop: Header=BB13_40 Depth=2
	v_add_nc_u32_e32 v30, v17, v8
	ds_load_b64 v[32:33], v25
	s_mov_b32 s25, 0
	v_ashrrev_i32_e32 v31, 31, v30
	s_delay_alu instid0(VALU_DEP_1) | instskip(NEXT) | instid1(VALU_DEP_1)
	v_lshlrev_b64_e32 v[30:31], 3, v[30:31]
	v_add_co_u32 v30, vcc_lo, s20, v30
	s_wait_alu 0xfffd
	s_delay_alu instid0(VALU_DEP_2)
	v_add_co_ci_u32_e64 v31, null, s21, v31, vcc_lo
	global_load_b64 v[30:31], v[30:31], off
	s_wait_loadcnt_dscnt 0x0
	v_fma_f64 v[30:31], v[3:4], v[30:31], v[32:33]
	ds_store_b64 v25, v[30:31]
.LBB13_44:                              ;   in Loop: Header=BB13_40 Depth=2
	s_and_not1_b32 vcc_lo, exec_lo, s25
	s_wait_alu 0xfffe
	s_cbranch_vccnz .LBB13_46
; %bb.45:                               ;   in Loop: Header=BB13_40 Depth=2
	v_add_nc_u32_e32 v30, v16, v8
	ds_load_b64 v[32:33], v26
	v_ashrrev_i32_e32 v31, 31, v30
	s_delay_alu instid0(VALU_DEP_1) | instskip(NEXT) | instid1(VALU_DEP_1)
	v_lshlrev_b64_e32 v[30:31], 3, v[30:31]
	v_add_co_u32 v30, vcc_lo, s20, v30
	s_wait_alu 0xfffd
	s_delay_alu instid0(VALU_DEP_2)
	v_add_co_ci_u32_e64 v31, null, s21, v31, vcc_lo
	global_load_b64 v[30:31], v[30:31], off
	s_wait_loadcnt_dscnt 0x0
	v_fma_f64 v[30:31], v[3:4], v[30:31], v[32:33]
	ds_store_b64 v26, v[30:31]
.LBB13_46:                              ;   in Loop: Header=BB13_40 Depth=2
	s_or_b32 exec_lo, exec_lo, s24
                                        ; implicit-def: $vgpr10
	s_and_not1_saveexec_b32 s23, s23
	s_branch .LBB13_48
.LBB13_47:                              ;   in Loop: Header=BB13_40 Depth=2
	s_and_not1_saveexec_b32 s23, s23
.LBB13_48:                              ;   in Loop: Header=BB13_40 Depth=2
	v_min_i32_e32 v6, v10, v6
; %bb.49:                               ;   in Loop: Header=BB13_40 Depth=2
	s_or_b32 exec_lo, exec_lo, s23
	s_mov_b32 s24, -1
                                        ; implicit-def: $vgpr10
	s_and_saveexec_b32 s23, s1
	s_cbranch_execz .LBB13_39
; %bb.50:                               ;   in Loop: Header=BB13_40 Depth=2
	v_dual_mov_b32 v7, v21 :: v_dual_add_nc_u32 v10, 1, v7
	v_add_co_u32 v18, s1, v18, 4
	v_add_nc_u32_e32 v8, s8, v8
	s_delay_alu instid0(VALU_DEP_3)
	v_cmp_ge_i32_e32 vcc_lo, v10, v21
	s_wait_alu 0xf1ff
	v_add_co_ci_u32_e64 v19, null, 0, v19, s1
	s_or_not1_b32 s24, vcc_lo, exec_lo
	s_branch .LBB13_39
.LBB13_51:                              ;   in Loop: Header=BB13_22 Depth=1
	s_or_b32 exec_lo, exec_lo, s22
	v_mov_b32_e32 v7, v30
.LBB13_52:                              ;   in Loop: Header=BB13_22 Depth=1
	s_wait_alu 0xfffe
	s_or_b32 exec_lo, exec_lo, s9
	s_wait_loadcnt_dscnt 0x0
	s_barrier_signal -1
	s_barrier_wait -1
	global_inv scope:SCOPE_SE
	ds_load_b32 v8, v23
	s_mov_b32 s1, exec_lo
	s_wait_dscnt 0x0
	v_cmpx_ne_u32_e32 0, v8
	s_cbranch_execz .LBB13_21
; %bb.53:                               ;   in Loop: Header=BB13_22 Depth=1
	v_ashrrev_i32_e32 v10, 31, v9
	v_add_nc_u32_e32 v8, s6, v29
	s_delay_alu instid0(VALU_DEP_2) | instskip(SKIP_1) | instid1(VALU_DEP_1)
	v_lshlrev_b64_e32 v[16:17], 2, v[9:10]
	s_wait_kmcnt 0x0
	v_add_co_u32 v16, vcc_lo, s12, v16
	s_wait_alu 0xfffd
	s_delay_alu instid0(VALU_DEP_2)
	v_add_co_ci_u32_e64 v17, null, s13, v17, vcc_lo
	global_store_b32 v[16:17], v8, off
	s_and_b32 exec_lo, exec_lo, s0
	s_cbranch_execz .LBB13_21
; %bb.54:                               ;   in Loop: Header=BB13_22 Depth=1
	v_mad_co_u64_u32 v[16:17], null, v9, s11, v[0:1]
	ds_load_b64 v[18:19], v27
	v_mad_co_u64_u32 v[16:17], null, v16, s11, v[15:16]
	s_delay_alu instid0(VALU_DEP_1) | instskip(NEXT) | instid1(VALU_DEP_1)
	v_ashrrev_i32_e32 v17, 31, v16
	v_lshlrev_b64_e32 v[16:17], 3, v[16:17]
	s_delay_alu instid0(VALU_DEP_1) | instskip(SKIP_1) | instid1(VALU_DEP_2)
	v_add_co_u32 v16, vcc_lo, s14, v16
	s_wait_alu 0xfffd
	v_add_co_ci_u32_e64 v17, null, s15, v17, vcc_lo
	s_wait_dscnt 0x0
	global_store_b64 v[16:17], v[18:19], off
	s_branch .LBB13_21
	.section	.rodata,"a",@progbits
	.p2align	6, 0x0
	.amdhsa_kernel _ZN9rocsparseL35bsrgeam_wf_per_row_multipass_kernelILj64ELj8EdEEv20rocsparse_direction_iiiNS_24const_host_device_scalarIT1_EEPKiS6_PKS3_S4_S6_S6_S8_S6_PiPS3_21rocsparse_index_base_SB_SB_b
		.amdhsa_group_segment_fixed_size 520
		.amdhsa_private_segment_fixed_size 0
		.amdhsa_kernarg_size 120
		.amdhsa_user_sgpr_count 2
		.amdhsa_user_sgpr_dispatch_ptr 0
		.amdhsa_user_sgpr_queue_ptr 0
		.amdhsa_user_sgpr_kernarg_segment_ptr 1
		.amdhsa_user_sgpr_dispatch_id 0
		.amdhsa_user_sgpr_private_segment_size 0
		.amdhsa_wavefront_size32 1
		.amdhsa_uses_dynamic_stack 0
		.amdhsa_enable_private_segment 0
		.amdhsa_system_sgpr_workgroup_id_x 1
		.amdhsa_system_sgpr_workgroup_id_y 0
		.amdhsa_system_sgpr_workgroup_id_z 0
		.amdhsa_system_sgpr_workgroup_info 0
		.amdhsa_system_vgpr_workitem_id 0
		.amdhsa_next_free_vgpr 34
		.amdhsa_next_free_sgpr 26
		.amdhsa_reserve_vcc 1
		.amdhsa_float_round_mode_32 0
		.amdhsa_float_round_mode_16_64 0
		.amdhsa_float_denorm_mode_32 3
		.amdhsa_float_denorm_mode_16_64 3
		.amdhsa_fp16_overflow 0
		.amdhsa_workgroup_processor_mode 1
		.amdhsa_memory_ordered 1
		.amdhsa_forward_progress 1
		.amdhsa_inst_pref_size 19
		.amdhsa_round_robin_scheduling 0
		.amdhsa_exception_fp_ieee_invalid_op 0
		.amdhsa_exception_fp_denorm_src 0
		.amdhsa_exception_fp_ieee_div_zero 0
		.amdhsa_exception_fp_ieee_overflow 0
		.amdhsa_exception_fp_ieee_underflow 0
		.amdhsa_exception_fp_ieee_inexact 0
		.amdhsa_exception_int_div_zero 0
	.end_amdhsa_kernel
	.section	.text._ZN9rocsparseL35bsrgeam_wf_per_row_multipass_kernelILj64ELj8EdEEv20rocsparse_direction_iiiNS_24const_host_device_scalarIT1_EEPKiS6_PKS3_S4_S6_S6_S8_S6_PiPS3_21rocsparse_index_base_SB_SB_b,"axG",@progbits,_ZN9rocsparseL35bsrgeam_wf_per_row_multipass_kernelILj64ELj8EdEEv20rocsparse_direction_iiiNS_24const_host_device_scalarIT1_EEPKiS6_PKS3_S4_S6_S6_S8_S6_PiPS3_21rocsparse_index_base_SB_SB_b,comdat
.Lfunc_end13:
	.size	_ZN9rocsparseL35bsrgeam_wf_per_row_multipass_kernelILj64ELj8EdEEv20rocsparse_direction_iiiNS_24const_host_device_scalarIT1_EEPKiS6_PKS3_S4_S6_S6_S8_S6_PiPS3_21rocsparse_index_base_SB_SB_b, .Lfunc_end13-_ZN9rocsparseL35bsrgeam_wf_per_row_multipass_kernelILj64ELj8EdEEv20rocsparse_direction_iiiNS_24const_host_device_scalarIT1_EEPKiS6_PKS3_S4_S6_S6_S8_S6_PiPS3_21rocsparse_index_base_SB_SB_b
                                        ; -- End function
	.set _ZN9rocsparseL35bsrgeam_wf_per_row_multipass_kernelILj64ELj8EdEEv20rocsparse_direction_iiiNS_24const_host_device_scalarIT1_EEPKiS6_PKS3_S4_S6_S6_S8_S6_PiPS3_21rocsparse_index_base_SB_SB_b.num_vgpr, 34
	.set _ZN9rocsparseL35bsrgeam_wf_per_row_multipass_kernelILj64ELj8EdEEv20rocsparse_direction_iiiNS_24const_host_device_scalarIT1_EEPKiS6_PKS3_S4_S6_S6_S8_S6_PiPS3_21rocsparse_index_base_SB_SB_b.num_agpr, 0
	.set _ZN9rocsparseL35bsrgeam_wf_per_row_multipass_kernelILj64ELj8EdEEv20rocsparse_direction_iiiNS_24const_host_device_scalarIT1_EEPKiS6_PKS3_S4_S6_S6_S8_S6_PiPS3_21rocsparse_index_base_SB_SB_b.numbered_sgpr, 26
	.set _ZN9rocsparseL35bsrgeam_wf_per_row_multipass_kernelILj64ELj8EdEEv20rocsparse_direction_iiiNS_24const_host_device_scalarIT1_EEPKiS6_PKS3_S4_S6_S6_S8_S6_PiPS3_21rocsparse_index_base_SB_SB_b.num_named_barrier, 0
	.set _ZN9rocsparseL35bsrgeam_wf_per_row_multipass_kernelILj64ELj8EdEEv20rocsparse_direction_iiiNS_24const_host_device_scalarIT1_EEPKiS6_PKS3_S4_S6_S6_S8_S6_PiPS3_21rocsparse_index_base_SB_SB_b.private_seg_size, 0
	.set _ZN9rocsparseL35bsrgeam_wf_per_row_multipass_kernelILj64ELj8EdEEv20rocsparse_direction_iiiNS_24const_host_device_scalarIT1_EEPKiS6_PKS3_S4_S6_S6_S8_S6_PiPS3_21rocsparse_index_base_SB_SB_b.uses_vcc, 1
	.set _ZN9rocsparseL35bsrgeam_wf_per_row_multipass_kernelILj64ELj8EdEEv20rocsparse_direction_iiiNS_24const_host_device_scalarIT1_EEPKiS6_PKS3_S4_S6_S6_S8_S6_PiPS3_21rocsparse_index_base_SB_SB_b.uses_flat_scratch, 0
	.set _ZN9rocsparseL35bsrgeam_wf_per_row_multipass_kernelILj64ELj8EdEEv20rocsparse_direction_iiiNS_24const_host_device_scalarIT1_EEPKiS6_PKS3_S4_S6_S6_S8_S6_PiPS3_21rocsparse_index_base_SB_SB_b.has_dyn_sized_stack, 0
	.set _ZN9rocsparseL35bsrgeam_wf_per_row_multipass_kernelILj64ELj8EdEEv20rocsparse_direction_iiiNS_24const_host_device_scalarIT1_EEPKiS6_PKS3_S4_S6_S6_S8_S6_PiPS3_21rocsparse_index_base_SB_SB_b.has_recursion, 0
	.set _ZN9rocsparseL35bsrgeam_wf_per_row_multipass_kernelILj64ELj8EdEEv20rocsparse_direction_iiiNS_24const_host_device_scalarIT1_EEPKiS6_PKS3_S4_S6_S6_S8_S6_PiPS3_21rocsparse_index_base_SB_SB_b.has_indirect_call, 0
	.section	.AMDGPU.csdata,"",@progbits
; Kernel info:
; codeLenInByte = 2356
; TotalNumSgprs: 28
; NumVgprs: 34
; ScratchSize: 0
; MemoryBound: 0
; FloatMode: 240
; IeeeMode: 1
; LDSByteSize: 520 bytes/workgroup (compile time only)
; SGPRBlocks: 0
; VGPRBlocks: 4
; NumSGPRsForWavesPerEU: 28
; NumVGPRsForWavesPerEU: 34
; Occupancy: 16
; WaveLimiterHint : 1
; COMPUTE_PGM_RSRC2:SCRATCH_EN: 0
; COMPUTE_PGM_RSRC2:USER_SGPR: 2
; COMPUTE_PGM_RSRC2:TRAP_HANDLER: 0
; COMPUTE_PGM_RSRC2:TGID_X_EN: 1
; COMPUTE_PGM_RSRC2:TGID_Y_EN: 0
; COMPUTE_PGM_RSRC2:TGID_Z_EN: 0
; COMPUTE_PGM_RSRC2:TIDIG_COMP_CNT: 0
	.section	.text._ZN9rocsparseL39bsrgeam_block_per_row_multipass_kernel2ILj256ELj16EdEEv20rocsparse_direction_iiiNS_24const_host_device_scalarIT1_EEPKiS6_PKS3_S4_S6_S6_S8_S6_PiPS3_21rocsparse_index_base_SB_SB_b,"axG",@progbits,_ZN9rocsparseL39bsrgeam_block_per_row_multipass_kernel2ILj256ELj16EdEEv20rocsparse_direction_iiiNS_24const_host_device_scalarIT1_EEPKiS6_PKS3_S4_S6_S6_S8_S6_PiPS3_21rocsparse_index_base_SB_SB_b,comdat
	.globl	_ZN9rocsparseL39bsrgeam_block_per_row_multipass_kernel2ILj256ELj16EdEEv20rocsparse_direction_iiiNS_24const_host_device_scalarIT1_EEPKiS6_PKS3_S4_S6_S6_S8_S6_PiPS3_21rocsparse_index_base_SB_SB_b ; -- Begin function _ZN9rocsparseL39bsrgeam_block_per_row_multipass_kernel2ILj256ELj16EdEEv20rocsparse_direction_iiiNS_24const_host_device_scalarIT1_EEPKiS6_PKS3_S4_S6_S6_S8_S6_PiPS3_21rocsparse_index_base_SB_SB_b
	.p2align	8
	.type	_ZN9rocsparseL39bsrgeam_block_per_row_multipass_kernel2ILj256ELj16EdEEv20rocsparse_direction_iiiNS_24const_host_device_scalarIT1_EEPKiS6_PKS3_S4_S6_S6_S8_S6_PiPS3_21rocsparse_index_base_SB_SB_b,@function
_ZN9rocsparseL39bsrgeam_block_per_row_multipass_kernel2ILj256ELj16EdEEv20rocsparse_direction_iiiNS_24const_host_device_scalarIT1_EEPKiS6_PKS3_S4_S6_S6_S8_S6_PiPS3_21rocsparse_index_base_SB_SB_b: ; @_ZN9rocsparseL39bsrgeam_block_per_row_multipass_kernel2ILj256ELj16EdEEv20rocsparse_direction_iiiNS_24const_host_device_scalarIT1_EEPKiS6_PKS3_S4_S6_S6_S8_S6_PiPS3_21rocsparse_index_base_SB_SB_b
; %bb.0:
	s_clause 0x2
	s_load_b128 s[4:7], s[0:1], 0x68
	s_load_b64 s[8:9], s[0:1], 0x10
	s_load_b64 s[2:3], s[0:1], 0x30
	s_wait_kmcnt 0x0
	s_bitcmp1_b32 s7, 0
	v_dual_mov_b32 v1, s8 :: v_dual_mov_b32 v2, s9
	s_cselect_b32 s7, -1, 0
	s_delay_alu instid0(SALU_CYCLE_1)
	s_and_b32 vcc_lo, exec_lo, s7
	s_xor_b32 s7, s7, -1
	s_cbranch_vccnz .LBB14_2
; %bb.1:
	v_dual_mov_b32 v1, s8 :: v_dual_mov_b32 v2, s9
	flat_load_b64 v[1:2], v[1:2]
.LBB14_2:
	s_clause 0x2
	s_load_b64 s[8:9], s[0:1], 0x50
	s_load_b64 s[12:13], s[0:1], 0x18
	;; [unrolled: 1-line block ×3, first 2 shown]
	v_dual_mov_b32 v4, s3 :: v_dual_mov_b32 v3, s2
	s_and_not1_b32 vcc_lo, exec_lo, s7
	s_cbranch_vccnz .LBB14_4
; %bb.3:
	v_dual_mov_b32 v4, s3 :: v_dual_mov_b32 v3, s2
	flat_load_b64 v[3:4], v[3:4]
.LBB14_4:
	s_mov_b32 s2, ttmp9
	s_ashr_i32 s3, ttmp9, 31
	s_wait_alu 0xfffe
	s_lshl_b64 s[16:17], s[2:3], 2
	s_wait_kmcnt 0x0
	s_add_nc_u64 s[2:3], s[12:13], s[16:17]
	s_add_nc_u64 s[10:11], s[10:11], s[16:17]
	s_load_b64 s[24:25], s[2:3], 0x0
	s_clause 0x1
	s_load_b64 s[2:3], s[0:1], 0x8
	s_load_b64 s[12:13], s[0:1], 0x20
	;; [unrolled: 1-line block ×3, first 2 shown]
	s_add_nc_u64 s[20:21], s[8:9], s[16:17]
	s_wait_kmcnt 0x0
	s_mov_b32 s15, s2
	s_sub_co_i32 s14, s24, s4
	s_cmp_ge_i32 s24, s25
	s_cbranch_scc1 .LBB14_6
; %bb.5:
	s_ashr_i32 s15, s14, 31
	s_delay_alu instid0(SALU_CYCLE_1)
	s_lshl_b64 s[8:9], s[14:15], 2
	s_wait_alu 0xfffe
	s_add_nc_u64 s[8:9], s[12:13], s[8:9]
	s_load_b32 s7, s[8:9], 0x0
	s_wait_kmcnt 0x0
	s_sub_co_i32 s15, s7, s4
.LBB14_6:
	s_clause 0x2
	s_load_b64 s[16:17], s[0:1], 0x60
	s_load_b64 s[18:19], s[0:1], 0x28
	s_load_b128 s[8:11], s[0:1], 0x40
	s_load_b32 s24, s[20:21], 0x0
	s_sub_co_i32 s20, s26, s5
	s_cmp_ge_i32 s26, s27
	s_mov_b32 s21, s2
	s_cbranch_scc1 .LBB14_8
; %bb.7:
	s_ashr_i32 s21, s20, 31
	s_delay_alu instid0(SALU_CYCLE_1)
	s_lshl_b64 s[22:23], s[20:21], 2
	s_wait_kmcnt 0x0
	s_add_nc_u64 s[22:23], s[8:9], s[22:23]
	s_load_b32 s7, s[22:23], 0x0
	s_wait_kmcnt 0x0
	s_sub_co_i32 s21, s7, s5
.LBB14_8:
	s_clause 0x1
	s_load_b32 s28, s[0:1], 0x0
	s_load_b64 s[22:23], s[0:1], 0x58
	v_dual_mov_b32 v8, 0 :: v_dual_and_b32 v5, 15, v0
	v_lshrrev_b32_e32 v6, 4, v0
	s_sub_co_i32 s7, s25, s4
	s_sub_co_i32 s26, s27, s5
	s_delay_alu instid0(VALU_DEP_2)
	v_cmp_gt_u32_e32 vcc_lo, s3, v5
	v_dual_mov_b32 v10, v8 :: v_dual_lshlrev_b32 v11, 7, v5
	v_dual_mov_b32 v14, 1 :: v_dual_lshlrev_b32 v7, 3, v6
	v_cmp_gt_i32_e64 s0, s3, v6
	s_wait_kmcnt 0x0
	s_sub_co_i32 s24, s24, s6
	s_min_i32 s25, s21, s15
	v_dual_mov_b32 v9, v8 :: v_dual_lshlrev_b32 v0, 3, v0
	s_and_b32 s27, vcc_lo, s0
	v_add_nc_u32_e32 v15, v7, v11
	s_mul_i32 s29, s3, s3
	s_cmp_lg_u32 s28, 0
	s_cselect_b32 s28, -1, 0
	s_branch .LBB14_11
.LBB14_9:                               ;   in Loop: Header=BB14_11 Depth=1
	s_wait_alu 0xfffe
	s_or_b32 exec_lo, exec_lo, s0
.LBB14_10:                              ;   in Loop: Header=BB14_11 Depth=1
	s_wait_loadcnt 0x0
	s_wait_storecnt 0x0
	s_barrier_signal -1
	s_barrier_wait -1
	global_inv scope:SCOPE_SE
	ds_load_b32 v7, v8 offset:2048
	s_wait_alu 0xfffe
	s_mov_b32 s25, s21
	s_wait_loadcnt_dscnt 0x0
	s_barrier_signal -1
	s_barrier_wait -1
	global_inv scope:SCOPE_SE
	v_readfirstlane_b32 s0, v7
	s_add_co_i32 s24, s0, s24
	s_cmp_lt_i32 s21, s2
	s_cbranch_scc0 .LBB14_49
.LBB14_11:                              ; =>This Loop Header: Depth=1
                                        ;     Child Loop BB14_13 Depth 2
                                        ;     Child Loop BB14_29 Depth 2
	s_cmp_ge_i32 s14, s7
	ds_store_b32 v8, v8 offset:2048
	ds_store_b64 v0, v[9:10]
	s_wait_loadcnt_dscnt 0x0
	s_barrier_signal -1
	s_barrier_wait -1
	global_inv scope:SCOPE_SE
	s_cbranch_scc1 .LBB14_26
; %bb.12:                               ;   in Loop: Header=BB14_11 Depth=1
	s_mul_i32 s0, s3, s14
	s_ashr_i32 s15, s14, 31
	s_wait_alu 0xfffe
	v_add_nc_u32_e32 v7, s0, v6
	v_add_nc_u32_e32 v13, s0, v5
	s_lshl_b64 s[0:1], s[14:15], 2
	s_mov_b32 s21, 0
	s_wait_alu 0xfffe
	s_add_nc_u64 s[0:1], s[12:13], s[0:1]
	v_mad_co_u64_u32 v[11:12], null, s3, v7, v[5:6]
	v_mad_co_u64_u32 v[12:13], null, s3, v13, v[6:7]
	s_mov_b32 s30, s2
.LBB14_13:                              ;   Parent Loop BB14_11 Depth=1
                                        ; =>  This Inner Loop Header: Depth=2
	s_load_b32 s15, s[0:1], 0x0
	s_mov_b32 s33, -1
	s_wait_kmcnt 0x0
	s_sub_co_i32 s34, s15, s4
                                        ; implicit-def: $sgpr15
	s_delay_alu instid0(SALU_CYCLE_1)
	s_cmp_eq_u32 s34, s25
	s_cselect_b32 s31, -1, 0
	s_cmp_lg_u32 s34, s25
	s_cbranch_scc1 .LBB14_17
; %bb.14:                               ;   in Loop: Header=BB14_13 Depth=2
	s_and_not1_b32 vcc_lo, exec_lo, s33
	s_wait_alu 0xfffe
	s_cbranch_vccz .LBB14_18
.LBB14_15:                              ;   in Loop: Header=BB14_13 Depth=2
	s_wait_alu 0xfffe
	s_and_not1_b32 vcc_lo, exec_lo, s31
	s_mov_b32 s30, -1
	s_wait_alu 0xfffe
	s_cbranch_vccnz .LBB14_23
.LBB14_16:                              ;   in Loop: Header=BB14_13 Depth=2
	s_add_co_i32 s14, s14, 1
	s_add_co_i32 s21, s21, s29
	s_cmp_ge_i32 s14, s7
	s_add_nc_u64 s[0:1], s[0:1], 4
	s_cselect_b32 s30, -1, 0
	s_wait_alu 0xfffe
	s_and_not1_b32 vcc_lo, exec_lo, s30
	s_wait_alu 0xfffe
	s_cbranch_vccnz .LBB14_24
	s_branch .LBB14_27
.LBB14_17:                              ;   in Loop: Header=BB14_13 Depth=2
	s_min_i32 s15, s34, s30
	s_cbranch_execnz .LBB14_15
.LBB14_18:                              ;   in Loop: Header=BB14_13 Depth=2
	ds_store_b32 v8, v14 offset:2048
	s_and_saveexec_b32 s15, s27
	s_cbranch_execz .LBB14_22
; %bb.19:                               ;   in Loop: Header=BB14_13 Depth=2
	s_and_b32 vcc_lo, exec_lo, s28
	s_wait_alu 0xfffe
	s_cbranch_vccz .LBB14_25
; %bb.20:                               ;   in Loop: Header=BB14_13 Depth=2
	v_add_nc_u32_e32 v7, s21, v12
	s_delay_alu instid0(VALU_DEP_1) | instskip(NEXT) | instid1(VALU_DEP_1)
	v_lshlrev_b64_e32 v[16:17], 3, v[7:8]
	v_add_co_u32 v16, vcc_lo, s18, v16
	s_wait_alu 0xfffd
	s_delay_alu instid0(VALU_DEP_2)
	v_add_co_ci_u32_e64 v17, null, s19, v17, vcc_lo
	global_load_b64 v[16:17], v[16:17], off
	s_wait_loadcnt 0x0
	v_mul_f64_e32 v[16:17], v[1:2], v[16:17]
	ds_store_b64 v15, v[16:17]
	s_cbranch_execnz .LBB14_22
.LBB14_21:                              ;   in Loop: Header=BB14_13 Depth=2
	v_add_nc_u32_e32 v7, s21, v11
	s_delay_alu instid0(VALU_DEP_1) | instskip(NEXT) | instid1(VALU_DEP_1)
	v_lshlrev_b64_e32 v[16:17], 3, v[7:8]
	v_add_co_u32 v16, vcc_lo, s18, v16
	s_wait_alu 0xfffd
	s_delay_alu instid0(VALU_DEP_2)
	v_add_co_ci_u32_e64 v17, null, s19, v17, vcc_lo
	global_load_b64 v[16:17], v[16:17], off
	s_wait_loadcnt 0x0
	v_mul_f64_e32 v[16:17], v[1:2], v[16:17]
	ds_store_b64 v0, v[16:17]
.LBB14_22:                              ;   in Loop: Header=BB14_13 Depth=2
	s_or_b32 exec_lo, exec_lo, s15
	s_mov_b32 s15, s30
	s_wait_alu 0xfffe
	s_and_not1_b32 vcc_lo, exec_lo, s31
	s_mov_b32 s30, -1
	s_wait_alu 0xfffe
	s_cbranch_vccz .LBB14_16
.LBB14_23:                              ;   in Loop: Header=BB14_13 Depth=2
                                        ; implicit-def: $sgpr21
                                        ; implicit-def: $sgpr0_sgpr1
	s_and_not1_b32 vcc_lo, exec_lo, s30
	s_wait_alu 0xfffe
	s_cbranch_vccz .LBB14_27
.LBB14_24:                              ;   in Loop: Header=BB14_13 Depth=2
	s_mov_b32 s30, s15
	s_branch .LBB14_13
.LBB14_25:                              ;   in Loop: Header=BB14_13 Depth=2
	s_branch .LBB14_21
.LBB14_26:                              ;   in Loop: Header=BB14_11 Depth=1
	s_mov_b32 s15, s2
.LBB14_27:                              ;   in Loop: Header=BB14_11 Depth=1
	s_cmp_ge_i32 s20, s26
	s_wait_loadcnt_dscnt 0x0
	s_barrier_signal -1
	s_barrier_wait -1
	global_inv scope:SCOPE_SE
	s_cbranch_scc1 .LBB14_42
; %bb.28:                               ;   in Loop: Header=BB14_11 Depth=1
	s_mul_i32 s0, s3, s20
	s_ashr_i32 s21, s20, 31
	s_wait_alu 0xfffe
	v_add_nc_u32_e32 v7, s0, v6
	v_add_nc_u32_e32 v13, s0, v5
	s_lshl_b64 s[0:1], s[20:21], 2
	s_mov_b32 s30, 0
	s_wait_alu 0xfffe
	s_add_nc_u64 s[0:1], s[8:9], s[0:1]
	v_mad_co_u64_u32 v[11:12], null, s3, v7, v[5:6]
	v_mad_co_u64_u32 v[12:13], null, s3, v13, v[6:7]
.LBB14_29:                              ;   Parent Loop BB14_11 Depth=1
                                        ; =>  This Inner Loop Header: Depth=2
	s_load_b32 s21, s[0:1], 0x0
	s_mov_b32 s33, -1
	s_wait_kmcnt 0x0
	s_sub_co_i32 s34, s21, s5
                                        ; implicit-def: $sgpr21
	s_delay_alu instid0(SALU_CYCLE_1)
	s_cmp_eq_u32 s34, s25
	s_cselect_b32 s31, -1, 0
	s_cmp_lg_u32 s34, s25
	s_cbranch_scc1 .LBB14_33
; %bb.30:                               ;   in Loop: Header=BB14_29 Depth=2
	s_and_not1_b32 vcc_lo, exec_lo, s33
	s_wait_alu 0xfffe
	s_cbranch_vccz .LBB14_34
.LBB14_31:                              ;   in Loop: Header=BB14_29 Depth=2
	s_wait_alu 0xfffe
	s_and_not1_b32 vcc_lo, exec_lo, s31
	s_mov_b32 s15, -1
	s_wait_alu 0xfffe
	s_cbranch_vccnz .LBB14_39
.LBB14_32:                              ;   in Loop: Header=BB14_29 Depth=2
	s_add_co_i32 s20, s20, 1
	s_add_co_i32 s30, s30, s29
	s_wait_alu 0xfffe
	s_cmp_ge_i32 s20, s26
	s_add_nc_u64 s[0:1], s[0:1], 4
	s_cselect_b32 s15, -1, 0
	s_delay_alu instid0(SALU_CYCLE_1)
	s_and_not1_b32 vcc_lo, exec_lo, s15
	s_wait_alu 0xfffe
	s_cbranch_vccnz .LBB14_40
	s_branch .LBB14_43
.LBB14_33:                              ;   in Loop: Header=BB14_29 Depth=2
	s_min_i32 s21, s34, s15
	s_cbranch_execnz .LBB14_31
.LBB14_34:                              ;   in Loop: Header=BB14_29 Depth=2
	ds_store_b32 v8, v14 offset:2048
	s_and_saveexec_b32 s21, s27
	s_cbranch_execz .LBB14_38
; %bb.35:                               ;   in Loop: Header=BB14_29 Depth=2
	s_and_b32 vcc_lo, exec_lo, s28
	s_wait_alu 0xfffe
	s_cbranch_vccz .LBB14_41
; %bb.36:                               ;   in Loop: Header=BB14_29 Depth=2
	v_add_nc_u32_e32 v7, s30, v12
	ds_load_b64 v[18:19], v15
	v_lshlrev_b64_e32 v[16:17], 3, v[7:8]
	s_delay_alu instid0(VALU_DEP_1) | instskip(SKIP_1) | instid1(VALU_DEP_2)
	v_add_co_u32 v16, vcc_lo, s10, v16
	s_wait_alu 0xfffd
	v_add_co_ci_u32_e64 v17, null, s11, v17, vcc_lo
	global_load_b64 v[16:17], v[16:17], off
	s_wait_loadcnt_dscnt 0x0
	v_fma_f64 v[16:17], v[3:4], v[16:17], v[18:19]
	ds_store_b64 v15, v[16:17]
	s_cbranch_execnz .LBB14_38
.LBB14_37:                              ;   in Loop: Header=BB14_29 Depth=2
	v_add_nc_u32_e32 v7, s30, v11
	ds_load_b64 v[18:19], v0
	v_lshlrev_b64_e32 v[16:17], 3, v[7:8]
	s_delay_alu instid0(VALU_DEP_1) | instskip(SKIP_1) | instid1(VALU_DEP_2)
	v_add_co_u32 v16, vcc_lo, s10, v16
	s_wait_alu 0xfffd
	v_add_co_ci_u32_e64 v17, null, s11, v17, vcc_lo
	global_load_b64 v[16:17], v[16:17], off
	s_wait_loadcnt_dscnt 0x0
	v_fma_f64 v[16:17], v[3:4], v[16:17], v[18:19]
	ds_store_b64 v0, v[16:17]
.LBB14_38:                              ;   in Loop: Header=BB14_29 Depth=2
	s_wait_alu 0xfffe
	s_or_b32 exec_lo, exec_lo, s21
	s_mov_b32 s21, s15
	s_and_not1_b32 vcc_lo, exec_lo, s31
	s_mov_b32 s15, -1
	s_wait_alu 0xfffe
	s_cbranch_vccz .LBB14_32
.LBB14_39:                              ;   in Loop: Header=BB14_29 Depth=2
                                        ; implicit-def: $sgpr30
                                        ; implicit-def: $sgpr0_sgpr1
	s_and_not1_b32 vcc_lo, exec_lo, s15
	s_wait_alu 0xfffe
	s_cbranch_vccz .LBB14_43
.LBB14_40:                              ;   in Loop: Header=BB14_29 Depth=2
	s_mov_b32 s15, s21
	s_branch .LBB14_29
.LBB14_41:                              ;   in Loop: Header=BB14_29 Depth=2
	s_branch .LBB14_37
.LBB14_42:                              ;   in Loop: Header=BB14_11 Depth=1
	s_mov_b32 s21, s15
.LBB14_43:                              ;   in Loop: Header=BB14_11 Depth=1
	s_wait_loadcnt_dscnt 0x0
	s_barrier_signal -1
	s_barrier_wait -1
	global_inv scope:SCOPE_SE
	ds_load_b32 v7, v8 offset:2048
	s_wait_dscnt 0x0
	v_cmp_eq_u32_e32 vcc_lo, 0, v7
	s_cbranch_vccnz .LBB14_10
; %bb.44:                               ;   in Loop: Header=BB14_11 Depth=1
	s_add_co_i32 s0, s25, s6
	s_ashr_i32 s25, s24, 31
	s_wait_alu 0xfffe
	v_mov_b32_e32 v7, s0
	s_lshl_b64 s[0:1], s[24:25], 2
	s_wait_alu 0xfffe
	s_add_nc_u64 s[0:1], s[22:23], s[0:1]
	global_store_b32 v8, v7, s[0:1]
	s_and_saveexec_b32 s0, s27
	s_cbranch_execz .LBB14_9
; %bb.45:                               ;   in Loop: Header=BB14_11 Depth=1
	s_and_b32 vcc_lo, exec_lo, s28
	s_mul_i32 s1, s24, s3
	s_wait_alu 0xfffe
	s_cbranch_vccz .LBB14_47
; %bb.46:                               ;   in Loop: Header=BB14_11 Depth=1
	v_add_nc_u32_e32 v7, s1, v5
	ds_load_b64 v[16:17], v15
	v_mad_co_u64_u32 v[11:12], null, v7, s3, v[6:7]
	v_mov_b32_e32 v12, v8
	s_delay_alu instid0(VALU_DEP_1) | instskip(NEXT) | instid1(VALU_DEP_1)
	v_lshlrev_b64_e32 v[11:12], 3, v[11:12]
	v_add_co_u32 v11, vcc_lo, s16, v11
	s_wait_alu 0xfffd
	s_delay_alu instid0(VALU_DEP_2)
	v_add_co_ci_u32_e64 v12, null, s17, v12, vcc_lo
	s_wait_dscnt 0x0
	global_store_b64 v[11:12], v[16:17], off
	s_cbranch_execnz .LBB14_9
	s_branch .LBB14_48
.LBB14_47:                              ;   in Loop: Header=BB14_11 Depth=1
.LBB14_48:                              ;   in Loop: Header=BB14_11 Depth=1
	v_add_nc_u32_e32 v7, s1, v6
	ds_load_b64 v[16:17], v0
	v_mad_co_u64_u32 v[11:12], null, v7, s3, v[5:6]
	v_mov_b32_e32 v12, v8
	s_delay_alu instid0(VALU_DEP_1) | instskip(NEXT) | instid1(VALU_DEP_1)
	v_lshlrev_b64_e32 v[11:12], 3, v[11:12]
	v_add_co_u32 v11, vcc_lo, s16, v11
	s_wait_alu 0xfffd
	s_delay_alu instid0(VALU_DEP_2)
	v_add_co_ci_u32_e64 v12, null, s17, v12, vcc_lo
	s_wait_dscnt 0x0
	global_store_b64 v[11:12], v[16:17], off
	s_branch .LBB14_9
.LBB14_49:
	s_endpgm
	.section	.rodata,"a",@progbits
	.p2align	6, 0x0
	.amdhsa_kernel _ZN9rocsparseL39bsrgeam_block_per_row_multipass_kernel2ILj256ELj16EdEEv20rocsparse_direction_iiiNS_24const_host_device_scalarIT1_EEPKiS6_PKS3_S4_S6_S6_S8_S6_PiPS3_21rocsparse_index_base_SB_SB_b
		.amdhsa_group_segment_fixed_size 2056
		.amdhsa_private_segment_fixed_size 0
		.amdhsa_kernarg_size 120
		.amdhsa_user_sgpr_count 2
		.amdhsa_user_sgpr_dispatch_ptr 0
		.amdhsa_user_sgpr_queue_ptr 0
		.amdhsa_user_sgpr_kernarg_segment_ptr 1
		.amdhsa_user_sgpr_dispatch_id 0
		.amdhsa_user_sgpr_private_segment_size 0
		.amdhsa_wavefront_size32 1
		.amdhsa_uses_dynamic_stack 0
		.amdhsa_enable_private_segment 0
		.amdhsa_system_sgpr_workgroup_id_x 1
		.amdhsa_system_sgpr_workgroup_id_y 0
		.amdhsa_system_sgpr_workgroup_id_z 0
		.amdhsa_system_sgpr_workgroup_info 0
		.amdhsa_system_vgpr_workitem_id 0
		.amdhsa_next_free_vgpr 20
		.amdhsa_next_free_sgpr 35
		.amdhsa_reserve_vcc 1
		.amdhsa_float_round_mode_32 0
		.amdhsa_float_round_mode_16_64 0
		.amdhsa_float_denorm_mode_32 3
		.amdhsa_float_denorm_mode_16_64 3
		.amdhsa_fp16_overflow 0
		.amdhsa_workgroup_processor_mode 1
		.amdhsa_memory_ordered 1
		.amdhsa_forward_progress 1
		.amdhsa_inst_pref_size 14
		.amdhsa_round_robin_scheduling 0
		.amdhsa_exception_fp_ieee_invalid_op 0
		.amdhsa_exception_fp_denorm_src 0
		.amdhsa_exception_fp_ieee_div_zero 0
		.amdhsa_exception_fp_ieee_overflow 0
		.amdhsa_exception_fp_ieee_underflow 0
		.amdhsa_exception_fp_ieee_inexact 0
		.amdhsa_exception_int_div_zero 0
	.end_amdhsa_kernel
	.section	.text._ZN9rocsparseL39bsrgeam_block_per_row_multipass_kernel2ILj256ELj16EdEEv20rocsparse_direction_iiiNS_24const_host_device_scalarIT1_EEPKiS6_PKS3_S4_S6_S6_S8_S6_PiPS3_21rocsparse_index_base_SB_SB_b,"axG",@progbits,_ZN9rocsparseL39bsrgeam_block_per_row_multipass_kernel2ILj256ELj16EdEEv20rocsparse_direction_iiiNS_24const_host_device_scalarIT1_EEPKiS6_PKS3_S4_S6_S6_S8_S6_PiPS3_21rocsparse_index_base_SB_SB_b,comdat
.Lfunc_end14:
	.size	_ZN9rocsparseL39bsrgeam_block_per_row_multipass_kernel2ILj256ELj16EdEEv20rocsparse_direction_iiiNS_24const_host_device_scalarIT1_EEPKiS6_PKS3_S4_S6_S6_S8_S6_PiPS3_21rocsparse_index_base_SB_SB_b, .Lfunc_end14-_ZN9rocsparseL39bsrgeam_block_per_row_multipass_kernel2ILj256ELj16EdEEv20rocsparse_direction_iiiNS_24const_host_device_scalarIT1_EEPKiS6_PKS3_S4_S6_S6_S8_S6_PiPS3_21rocsparse_index_base_SB_SB_b
                                        ; -- End function
	.set _ZN9rocsparseL39bsrgeam_block_per_row_multipass_kernel2ILj256ELj16EdEEv20rocsparse_direction_iiiNS_24const_host_device_scalarIT1_EEPKiS6_PKS3_S4_S6_S6_S8_S6_PiPS3_21rocsparse_index_base_SB_SB_b.num_vgpr, 20
	.set _ZN9rocsparseL39bsrgeam_block_per_row_multipass_kernel2ILj256ELj16EdEEv20rocsparse_direction_iiiNS_24const_host_device_scalarIT1_EEPKiS6_PKS3_S4_S6_S6_S8_S6_PiPS3_21rocsparse_index_base_SB_SB_b.num_agpr, 0
	.set _ZN9rocsparseL39bsrgeam_block_per_row_multipass_kernel2ILj256ELj16EdEEv20rocsparse_direction_iiiNS_24const_host_device_scalarIT1_EEPKiS6_PKS3_S4_S6_S6_S8_S6_PiPS3_21rocsparse_index_base_SB_SB_b.numbered_sgpr, 35
	.set _ZN9rocsparseL39bsrgeam_block_per_row_multipass_kernel2ILj256ELj16EdEEv20rocsparse_direction_iiiNS_24const_host_device_scalarIT1_EEPKiS6_PKS3_S4_S6_S6_S8_S6_PiPS3_21rocsparse_index_base_SB_SB_b.num_named_barrier, 0
	.set _ZN9rocsparseL39bsrgeam_block_per_row_multipass_kernel2ILj256ELj16EdEEv20rocsparse_direction_iiiNS_24const_host_device_scalarIT1_EEPKiS6_PKS3_S4_S6_S6_S8_S6_PiPS3_21rocsparse_index_base_SB_SB_b.private_seg_size, 0
	.set _ZN9rocsparseL39bsrgeam_block_per_row_multipass_kernel2ILj256ELj16EdEEv20rocsparse_direction_iiiNS_24const_host_device_scalarIT1_EEPKiS6_PKS3_S4_S6_S6_S8_S6_PiPS3_21rocsparse_index_base_SB_SB_b.uses_vcc, 1
	.set _ZN9rocsparseL39bsrgeam_block_per_row_multipass_kernel2ILj256ELj16EdEEv20rocsparse_direction_iiiNS_24const_host_device_scalarIT1_EEPKiS6_PKS3_S4_S6_S6_S8_S6_PiPS3_21rocsparse_index_base_SB_SB_b.uses_flat_scratch, 0
	.set _ZN9rocsparseL39bsrgeam_block_per_row_multipass_kernel2ILj256ELj16EdEEv20rocsparse_direction_iiiNS_24const_host_device_scalarIT1_EEPKiS6_PKS3_S4_S6_S6_S8_S6_PiPS3_21rocsparse_index_base_SB_SB_b.has_dyn_sized_stack, 0
	.set _ZN9rocsparseL39bsrgeam_block_per_row_multipass_kernel2ILj256ELj16EdEEv20rocsparse_direction_iiiNS_24const_host_device_scalarIT1_EEPKiS6_PKS3_S4_S6_S6_S8_S6_PiPS3_21rocsparse_index_base_SB_SB_b.has_recursion, 0
	.set _ZN9rocsparseL39bsrgeam_block_per_row_multipass_kernel2ILj256ELj16EdEEv20rocsparse_direction_iiiNS_24const_host_device_scalarIT1_EEPKiS6_PKS3_S4_S6_S6_S8_S6_PiPS3_21rocsparse_index_base_SB_SB_b.has_indirect_call, 0
	.section	.AMDGPU.csdata,"",@progbits
; Kernel info:
; codeLenInByte = 1716
; TotalNumSgprs: 37
; NumVgprs: 20
; ScratchSize: 0
; MemoryBound: 0
; FloatMode: 240
; IeeeMode: 1
; LDSByteSize: 2056 bytes/workgroup (compile time only)
; SGPRBlocks: 0
; VGPRBlocks: 2
; NumSGPRsForWavesPerEU: 37
; NumVGPRsForWavesPerEU: 20
; Occupancy: 16
; WaveLimiterHint : 1
; COMPUTE_PGM_RSRC2:SCRATCH_EN: 0
; COMPUTE_PGM_RSRC2:USER_SGPR: 2
; COMPUTE_PGM_RSRC2:TRAP_HANDLER: 0
; COMPUTE_PGM_RSRC2:TGID_X_EN: 1
; COMPUTE_PGM_RSRC2:TGID_Y_EN: 0
; COMPUTE_PGM_RSRC2:TGID_Z_EN: 0
; COMPUTE_PGM_RSRC2:TIDIG_COMP_CNT: 0
	.section	.text._ZN9rocsparseL39bsrgeam_block_per_row_multipass_kernel2ILj256ELj32EdEEv20rocsparse_direction_iiiNS_24const_host_device_scalarIT1_EEPKiS6_PKS3_S4_S6_S6_S8_S6_PiPS3_21rocsparse_index_base_SB_SB_b,"axG",@progbits,_ZN9rocsparseL39bsrgeam_block_per_row_multipass_kernel2ILj256ELj32EdEEv20rocsparse_direction_iiiNS_24const_host_device_scalarIT1_EEPKiS6_PKS3_S4_S6_S6_S8_S6_PiPS3_21rocsparse_index_base_SB_SB_b,comdat
	.globl	_ZN9rocsparseL39bsrgeam_block_per_row_multipass_kernel2ILj256ELj32EdEEv20rocsparse_direction_iiiNS_24const_host_device_scalarIT1_EEPKiS6_PKS3_S4_S6_S6_S8_S6_PiPS3_21rocsparse_index_base_SB_SB_b ; -- Begin function _ZN9rocsparseL39bsrgeam_block_per_row_multipass_kernel2ILj256ELj32EdEEv20rocsparse_direction_iiiNS_24const_host_device_scalarIT1_EEPKiS6_PKS3_S4_S6_S6_S8_S6_PiPS3_21rocsparse_index_base_SB_SB_b
	.p2align	8
	.type	_ZN9rocsparseL39bsrgeam_block_per_row_multipass_kernel2ILj256ELj32EdEEv20rocsparse_direction_iiiNS_24const_host_device_scalarIT1_EEPKiS6_PKS3_S4_S6_S6_S8_S6_PiPS3_21rocsparse_index_base_SB_SB_b,@function
_ZN9rocsparseL39bsrgeam_block_per_row_multipass_kernel2ILj256ELj32EdEEv20rocsparse_direction_iiiNS_24const_host_device_scalarIT1_EEPKiS6_PKS3_S4_S6_S6_S8_S6_PiPS3_21rocsparse_index_base_SB_SB_b: ; @_ZN9rocsparseL39bsrgeam_block_per_row_multipass_kernel2ILj256ELj32EdEEv20rocsparse_direction_iiiNS_24const_host_device_scalarIT1_EEPKiS6_PKS3_S4_S6_S6_S8_S6_PiPS3_21rocsparse_index_base_SB_SB_b
; %bb.0:
	s_clause 0x2
	s_load_b128 s[4:7], s[0:1], 0x68
	s_load_b64 s[8:9], s[0:1], 0x10
	s_load_b64 s[2:3], s[0:1], 0x30
	s_wait_kmcnt 0x0
	s_bitcmp1_b32 s7, 0
	v_dual_mov_b32 v1, s8 :: v_dual_mov_b32 v2, s9
	s_cselect_b32 s7, -1, 0
	s_delay_alu instid0(SALU_CYCLE_1)
	s_and_b32 vcc_lo, exec_lo, s7
	s_xor_b32 s7, s7, -1
	s_cbranch_vccnz .LBB15_2
; %bb.1:
	v_dual_mov_b32 v1, s8 :: v_dual_mov_b32 v2, s9
	flat_load_b64 v[1:2], v[1:2]
.LBB15_2:
	s_clause 0x2
	s_load_b64 s[8:9], s[0:1], 0x50
	s_load_b64 s[12:13], s[0:1], 0x18
	;; [unrolled: 1-line block ×3, first 2 shown]
	v_dual_mov_b32 v4, s3 :: v_dual_mov_b32 v3, s2
	s_and_not1_b32 vcc_lo, exec_lo, s7
	s_cbranch_vccnz .LBB15_4
; %bb.3:
	v_dual_mov_b32 v4, s3 :: v_dual_mov_b32 v3, s2
	flat_load_b64 v[3:4], v[3:4]
.LBB15_4:
	s_mov_b32 s2, ttmp9
	s_ashr_i32 s3, ttmp9, 31
	s_wait_alu 0xfffe
	s_lshl_b64 s[16:17], s[2:3], 2
	s_wait_kmcnt 0x0
	s_add_nc_u64 s[2:3], s[12:13], s[16:17]
	s_add_nc_u64 s[10:11], s[10:11], s[16:17]
	s_load_b64 s[24:25], s[2:3], 0x0
	s_clause 0x1
	s_load_b64 s[2:3], s[0:1], 0x8
	s_load_b64 s[12:13], s[0:1], 0x20
	;; [unrolled: 1-line block ×3, first 2 shown]
	s_add_nc_u64 s[20:21], s[8:9], s[16:17]
	s_wait_kmcnt 0x0
	s_mov_b32 s15, s2
	s_sub_co_i32 s14, s24, s4
	s_cmp_ge_i32 s24, s25
	s_cbranch_scc1 .LBB15_6
; %bb.5:
	s_ashr_i32 s15, s14, 31
	s_delay_alu instid0(SALU_CYCLE_1)
	s_lshl_b64 s[8:9], s[14:15], 2
	s_wait_alu 0xfffe
	s_add_nc_u64 s[8:9], s[12:13], s[8:9]
	s_load_b32 s7, s[8:9], 0x0
	s_wait_kmcnt 0x0
	s_sub_co_i32 s15, s7, s4
.LBB15_6:
	s_clause 0x2
	s_load_b64 s[16:17], s[0:1], 0x60
	s_load_b64 s[18:19], s[0:1], 0x28
	s_load_b128 s[8:11], s[0:1], 0x40
	s_load_b32 s24, s[20:21], 0x0
	s_sub_co_i32 s20, s26, s5
	s_cmp_ge_i32 s26, s27
	s_mov_b32 s21, s2
	s_cbranch_scc1 .LBB15_8
; %bb.7:
	s_ashr_i32 s21, s20, 31
	s_delay_alu instid0(SALU_CYCLE_1)
	s_lshl_b64 s[22:23], s[20:21], 2
	s_wait_kmcnt 0x0
	s_add_nc_u64 s[22:23], s[8:9], s[22:23]
	s_load_b32 s7, s[22:23], 0x0
	s_wait_kmcnt 0x0
	s_sub_co_i32 s21, s7, s5
.LBB15_8:
	s_clause 0x1
	s_load_b32 s28, s[0:1], 0x0
	s_load_b64 s[22:23], s[0:1], 0x58
	v_lshrrev_b32_e32 v5, 3, v0
	v_dual_mov_b32 v7, 0 :: v_dual_and_b32 v0, 7, v0
	s_mov_b32 s30, 0
	s_sub_co_i32 s7, s25, s4
	s_mov_b32 s31, s30
	s_delay_alu instid0(VALU_DEP_1)
	v_or_b32_e32 v16, 8, v0
	v_lshlrev_b32_e32 v6, 8, v5
	v_cmp_gt_i32_e32 vcc_lo, s3, v5
	v_cmp_gt_u32_e64 s0, s3, v0
	v_or_b32_e32 v18, 16, v0
	v_cmp_gt_u32_e64 s1, s3, v16
	v_or_b32_e32 v23, 24, v0
	v_dual_mov_b32 v8, s30 :: v_dual_mov_b32 v27, 1
	s_sub_co_i32 s26, s27, s5
	s_wait_kmcnt 0x0
	s_sub_co_i32 s24, s24, s6
	s_min_i32 s25, s21, s15
	v_mov_b32_e32 v9, s31
	v_lshl_or_b32 v17, v0, 3, v6
	v_mad_i32_i24 v6, 0xffffff08, v5, v6
	s_cmp_lg_u32 s28, 0
	s_mul_i32 s33, s3, s3
	s_cselect_b32 s27, -1, 0
	s_and_b32 s28, vcc_lo, s0
	s_and_b32 s29, vcc_lo, s1
	v_cmp_gt_u32_e64 s0, s3, v18
	v_cmp_gt_u32_e64 s1, s3, v23
	v_or_b32_e32 v19, 64, v17
	v_or_b32_e32 v20, 0x80, v17
	;; [unrolled: 1-line block ×3, first 2 shown]
	v_lshl_add_u32 v22, v0, 8, v6
	v_lshl_add_u32 v24, v16, 8, v6
	;; [unrolled: 1-line block ×4, first 2 shown]
	s_and_b32 s30, vcc_lo, s0
	s_and_b32 s31, vcc_lo, s1
	s_branch .LBB15_12
.LBB15_9:                               ;   in Loop: Header=BB15_12 Depth=1
	ds_load_b64 v[10:11], v11
	v_lshlrev_b64_e32 v[12:13], 3, v[6:7]
	s_delay_alu instid0(VALU_DEP_1) | instskip(SKIP_1) | instid1(VALU_DEP_2)
	v_add_co_u32 v12, vcc_lo, s16, v12
	s_wait_alu 0xfffd
	v_add_co_ci_u32_e64 v13, null, s17, v13, vcc_lo
	s_wait_dscnt 0x0
	global_store_b64 v[12:13], v[10:11], off
.LBB15_10:                              ;   in Loop: Header=BB15_12 Depth=1
	s_wait_alu 0xfffe
	s_or_b32 exec_lo, exec_lo, s1
.LBB15_11:                              ;   in Loop: Header=BB15_12 Depth=1
	s_wait_loadcnt 0x0
	s_wait_storecnt 0x0
	s_barrier_signal -1
	s_barrier_wait -1
	global_inv scope:SCOPE_SE
	ds_load_b32 v6, v7 offset:8192
	s_wait_alu 0xfffe
	s_mov_b32 s25, s21
	s_wait_loadcnt_dscnt 0x0
	s_barrier_signal -1
	s_barrier_wait -1
	global_inv scope:SCOPE_SE
	v_readfirstlane_b32 s0, v6
	s_add_co_i32 s24, s0, s24
	s_cmp_lt_i32 s21, s2
	s_cbranch_scc0 .LBB15_98
.LBB15_12:                              ; =>This Loop Header: Depth=1
                                        ;     Child Loop BB15_14 Depth 2
                                        ;     Child Loop BB15_45 Depth 2
	s_cmp_ge_i32 s14, s7
	ds_store_b32 v7, v7 offset:8192
	ds_store_2addr_b64 v17, v[8:9], v[8:9] offset1:8
	ds_store_2addr_b64 v17, v[8:9], v[8:9] offset0:16 offset1:24
	s_wait_loadcnt_dscnt 0x0
	s_barrier_signal -1
	s_barrier_wait -1
	global_inv scope:SCOPE_SE
	s_cbranch_scc1 .LBB15_42
; %bb.13:                               ;   in Loop: Header=BB15_12 Depth=1
	s_mul_i32 s0, s3, s14
	s_ashr_i32 s15, s14, 31
	s_wait_alu 0xfffe
	v_add_nc_u32_e32 v6, s0, v0
	v_add_nc_u32_e32 v12, s0, v16
	;; [unrolled: 1-line block ×4, first 2 shown]
	s_mov_b32 s21, 0
	v_mad_co_u64_u32 v[10:11], null, s3, v6, v[5:6]
	v_mad_co_u64_u32 v[11:12], null, s3, v12, v[5:6]
	v_add_nc_u32_e32 v6, s0, v23
	s_lshl_b64 s[0:1], s[14:15], 2
	s_mov_b32 s34, s2
	s_wait_alu 0xfffe
	s_add_nc_u64 s[0:1], s[12:13], s[0:1]
	v_mad_co_u64_u32 v[12:13], null, s3, v13, v[5:6]
	v_mad_co_u64_u32 v[13:14], null, s3, v6, v[5:6]
	;; [unrolled: 1-line block ×3, first 2 shown]
.LBB15_14:                              ;   Parent Loop BB15_12 Depth=1
                                        ; =>  This Inner Loop Header: Depth=2
	s_load_b32 s15, s[0:1], 0x0
	s_mov_b32 s36, -1
	s_wait_kmcnt 0x0
	s_sub_co_i32 s37, s15, s4
                                        ; implicit-def: $sgpr15
	s_delay_alu instid0(SALU_CYCLE_1)
	s_cmp_eq_u32 s37, s25
	s_cselect_b32 s35, -1, 0
	s_cmp_lg_u32 s37, s25
	s_cbranch_scc1 .LBB15_18
; %bb.15:                               ;   in Loop: Header=BB15_14 Depth=2
	s_and_not1_b32 vcc_lo, exec_lo, s36
	s_wait_alu 0xfffe
	s_cbranch_vccz .LBB15_19
.LBB15_16:                              ;   in Loop: Header=BB15_14 Depth=2
	s_wait_alu 0xfffe
	s_and_not1_b32 vcc_lo, exec_lo, s35
	s_mov_b32 s34, -1
	s_wait_alu 0xfffe
	s_cbranch_vccnz .LBB15_36
.LBB15_17:                              ;   in Loop: Header=BB15_14 Depth=2
	s_add_co_i32 s14, s14, 1
	s_add_co_i32 s21, s21, s33
	s_cmp_ge_i32 s14, s7
	s_add_nc_u64 s[0:1], s[0:1], 4
	s_cselect_b32 s34, -1, 0
	s_wait_alu 0xfffe
	s_and_not1_b32 vcc_lo, exec_lo, s34
	s_wait_alu 0xfffe
	s_cbranch_vccnz .LBB15_37
	s_branch .LBB15_43
.LBB15_18:                              ;   in Loop: Header=BB15_14 Depth=2
	s_min_i32 s15, s37, s34
	s_cbranch_execnz .LBB15_16
.LBB15_19:                              ;   in Loop: Header=BB15_14 Depth=2
	ds_store_b32 v7, v27 offset:8192
	s_and_saveexec_b32 s15, s28
	s_cbranch_execz .LBB15_23
; %bb.20:                               ;   in Loop: Header=BB15_14 Depth=2
	s_and_b32 vcc_lo, exec_lo, s27
	s_wait_alu 0xfffe
	s_cbranch_vccz .LBB15_38
; %bb.21:                               ;   in Loop: Header=BB15_14 Depth=2
	v_add_nc_u32_e32 v6, s21, v10
	s_delay_alu instid0(VALU_DEP_1) | instskip(NEXT) | instid1(VALU_DEP_1)
	v_lshlrev_b64_e32 v[28:29], 3, v[6:7]
	v_add_co_u32 v28, vcc_lo, s18, v28
	s_wait_alu 0xfffd
	s_delay_alu instid0(VALU_DEP_2)
	v_add_co_ci_u32_e64 v29, null, s19, v29, vcc_lo
	global_load_b64 v[28:29], v[28:29], off
	s_wait_loadcnt 0x0
	v_mul_f64_e32 v[28:29], v[1:2], v[28:29]
	ds_store_b64 v22, v[28:29]
	s_cbranch_execnz .LBB15_23
.LBB15_22:                              ;   in Loop: Header=BB15_14 Depth=2
	v_add_nc_u32_e32 v6, s21, v14
	s_delay_alu instid0(VALU_DEP_1) | instskip(NEXT) | instid1(VALU_DEP_1)
	v_lshlrev_b64_e32 v[28:29], 3, v[6:7]
	v_add_co_u32 v28, vcc_lo, s18, v28
	s_wait_alu 0xfffd
	s_delay_alu instid0(VALU_DEP_2)
	v_add_co_ci_u32_e64 v29, null, s19, v29, vcc_lo
	global_load_b64 v[28:29], v[28:29], off
	s_wait_loadcnt 0x0
	v_mul_f64_e32 v[28:29], v[1:2], v[28:29]
	ds_store_b64 v17, v[28:29]
.LBB15_23:                              ;   in Loop: Header=BB15_14 Depth=2
	s_or_b32 exec_lo, exec_lo, s15
	s_and_saveexec_b32 s15, s29
	s_cbranch_execz .LBB15_27
; %bb.24:                               ;   in Loop: Header=BB15_14 Depth=2
	s_and_not1_b32 vcc_lo, exec_lo, s27
	s_wait_alu 0xfffe
	s_cbranch_vccnz .LBB15_39
; %bb.25:                               ;   in Loop: Header=BB15_14 Depth=2
	v_add_nc_u32_e32 v6, s21, v11
	s_delay_alu instid0(VALU_DEP_1) | instskip(NEXT) | instid1(VALU_DEP_1)
	v_lshlrev_b64_e32 v[28:29], 3, v[6:7]
	v_add_co_u32 v28, vcc_lo, s18, v28
	s_wait_alu 0xfffd
	s_delay_alu instid0(VALU_DEP_2)
	v_add_co_ci_u32_e64 v29, null, s19, v29, vcc_lo
	global_load_b64 v[28:29], v[28:29], off
	s_wait_loadcnt 0x0
	v_mul_f64_e32 v[28:29], v[1:2], v[28:29]
	ds_store_b64 v24, v[28:29]
	s_cbranch_execnz .LBB15_27
.LBB15_26:                              ;   in Loop: Header=BB15_14 Depth=2
	v_add3_u32 v6, v14, s21, 8
	s_delay_alu instid0(VALU_DEP_1) | instskip(NEXT) | instid1(VALU_DEP_1)
	v_lshlrev_b64_e32 v[28:29], 3, v[6:7]
	v_add_co_u32 v28, vcc_lo, s18, v28
	s_wait_alu 0xfffd
	s_delay_alu instid0(VALU_DEP_2)
	v_add_co_ci_u32_e64 v29, null, s19, v29, vcc_lo
	global_load_b64 v[28:29], v[28:29], off
	s_wait_loadcnt 0x0
	v_mul_f64_e32 v[28:29], v[1:2], v[28:29]
	ds_store_b64 v19, v[28:29]
.LBB15_27:                              ;   in Loop: Header=BB15_14 Depth=2
	s_or_b32 exec_lo, exec_lo, s15
	s_and_saveexec_b32 s15, s30
	s_cbranch_execz .LBB15_31
; %bb.28:                               ;   in Loop: Header=BB15_14 Depth=2
	s_and_not1_b32 vcc_lo, exec_lo, s27
	s_wait_alu 0xfffe
	s_cbranch_vccnz .LBB15_40
; %bb.29:                               ;   in Loop: Header=BB15_14 Depth=2
	v_add_nc_u32_e32 v6, s21, v12
	s_delay_alu instid0(VALU_DEP_1) | instskip(NEXT) | instid1(VALU_DEP_1)
	v_lshlrev_b64_e32 v[28:29], 3, v[6:7]
	v_add_co_u32 v28, vcc_lo, s18, v28
	s_wait_alu 0xfffd
	s_delay_alu instid0(VALU_DEP_2)
	v_add_co_ci_u32_e64 v29, null, s19, v29, vcc_lo
	global_load_b64 v[28:29], v[28:29], off
	s_wait_loadcnt 0x0
	v_mul_f64_e32 v[28:29], v[1:2], v[28:29]
	ds_store_b64 v25, v[28:29]
	s_cbranch_execnz .LBB15_31
.LBB15_30:                              ;   in Loop: Header=BB15_14 Depth=2
	v_add3_u32 v6, v14, s21, 16
	s_delay_alu instid0(VALU_DEP_1) | instskip(NEXT) | instid1(VALU_DEP_1)
	v_lshlrev_b64_e32 v[28:29], 3, v[6:7]
	v_add_co_u32 v28, vcc_lo, s18, v28
	s_wait_alu 0xfffd
	s_delay_alu instid0(VALU_DEP_2)
	v_add_co_ci_u32_e64 v29, null, s19, v29, vcc_lo
	global_load_b64 v[28:29], v[28:29], off
	s_wait_loadcnt 0x0
	v_mul_f64_e32 v[28:29], v[1:2], v[28:29]
	ds_store_b64 v20, v[28:29]
.LBB15_31:                              ;   in Loop: Header=BB15_14 Depth=2
	s_or_b32 exec_lo, exec_lo, s15
	s_and_saveexec_b32 s15, s31
	s_cbranch_execz .LBB15_35
; %bb.32:                               ;   in Loop: Header=BB15_14 Depth=2
	s_and_not1_b32 vcc_lo, exec_lo, s27
	s_wait_alu 0xfffe
	s_cbranch_vccnz .LBB15_41
; %bb.33:                               ;   in Loop: Header=BB15_14 Depth=2
	v_add_nc_u32_e32 v6, s21, v13
	s_delay_alu instid0(VALU_DEP_1) | instskip(NEXT) | instid1(VALU_DEP_1)
	v_lshlrev_b64_e32 v[28:29], 3, v[6:7]
	v_add_co_u32 v28, vcc_lo, s18, v28
	s_wait_alu 0xfffd
	s_delay_alu instid0(VALU_DEP_2)
	v_add_co_ci_u32_e64 v29, null, s19, v29, vcc_lo
	global_load_b64 v[28:29], v[28:29], off
	s_wait_loadcnt 0x0
	v_mul_f64_e32 v[28:29], v[1:2], v[28:29]
	ds_store_b64 v26, v[28:29]
	s_cbranch_execnz .LBB15_35
.LBB15_34:                              ;   in Loop: Header=BB15_14 Depth=2
	v_add3_u32 v6, v14, s21, 24
	s_delay_alu instid0(VALU_DEP_1) | instskip(NEXT) | instid1(VALU_DEP_1)
	v_lshlrev_b64_e32 v[28:29], 3, v[6:7]
	v_add_co_u32 v28, vcc_lo, s18, v28
	s_wait_alu 0xfffd
	s_delay_alu instid0(VALU_DEP_2)
	v_add_co_ci_u32_e64 v29, null, s19, v29, vcc_lo
	global_load_b64 v[28:29], v[28:29], off
	s_wait_loadcnt 0x0
	v_mul_f64_e32 v[28:29], v[1:2], v[28:29]
	ds_store_b64 v21, v[28:29]
.LBB15_35:                              ;   in Loop: Header=BB15_14 Depth=2
	s_or_b32 exec_lo, exec_lo, s15
	s_mov_b32 s15, s34
	s_wait_alu 0xfffe
	s_and_not1_b32 vcc_lo, exec_lo, s35
	s_mov_b32 s34, -1
	s_wait_alu 0xfffe
	s_cbranch_vccz .LBB15_17
.LBB15_36:                              ;   in Loop: Header=BB15_14 Depth=2
                                        ; implicit-def: $sgpr21
                                        ; implicit-def: $sgpr0_sgpr1
	s_and_not1_b32 vcc_lo, exec_lo, s34
	s_wait_alu 0xfffe
	s_cbranch_vccz .LBB15_43
.LBB15_37:                              ;   in Loop: Header=BB15_14 Depth=2
	s_mov_b32 s34, s15
	s_branch .LBB15_14
.LBB15_38:                              ;   in Loop: Header=BB15_14 Depth=2
	s_branch .LBB15_22
.LBB15_39:                              ;   in Loop: Header=BB15_14 Depth=2
	s_branch .LBB15_26
.LBB15_40:                              ;   in Loop: Header=BB15_14 Depth=2
	s_branch .LBB15_30
.LBB15_41:                              ;   in Loop: Header=BB15_14 Depth=2
	s_branch .LBB15_34
.LBB15_42:                              ;   in Loop: Header=BB15_12 Depth=1
	s_mov_b32 s15, s2
.LBB15_43:                              ;   in Loop: Header=BB15_12 Depth=1
	s_cmp_ge_i32 s20, s26
	s_wait_loadcnt_dscnt 0x0
	s_barrier_signal -1
	s_barrier_wait -1
	global_inv scope:SCOPE_SE
	s_cbranch_scc1 .LBB15_73
; %bb.44:                               ;   in Loop: Header=BB15_12 Depth=1
	s_mul_i32 s0, s3, s20
	s_ashr_i32 s21, s20, 31
	s_wait_alu 0xfffe
	v_add_nc_u32_e32 v6, s0, v0
	v_add_nc_u32_e32 v12, s0, v16
	;; [unrolled: 1-line block ×4, first 2 shown]
	s_mov_b32 s34, 0
	v_mad_co_u64_u32 v[10:11], null, s3, v6, v[5:6]
	v_mad_co_u64_u32 v[11:12], null, s3, v12, v[5:6]
	v_add_nc_u32_e32 v6, s0, v23
	s_lshl_b64 s[0:1], s[20:21], 2
	s_wait_alu 0xfffe
	s_add_nc_u64 s[0:1], s[8:9], s[0:1]
	s_delay_alu instid0(VALU_DEP_1)
	v_mad_co_u64_u32 v[12:13], null, s3, v13, v[5:6]
	v_mad_co_u64_u32 v[13:14], null, s3, v6, v[5:6]
	v_mad_co_u64_u32 v[14:15], null, s3, v15, v[0:1]
.LBB15_45:                              ;   Parent Loop BB15_12 Depth=1
                                        ; =>  This Inner Loop Header: Depth=2
	s_load_b32 s21, s[0:1], 0x0
	s_mov_b32 s36, -1
	s_wait_kmcnt 0x0
	s_sub_co_i32 s37, s21, s5
                                        ; implicit-def: $sgpr21
	s_delay_alu instid0(SALU_CYCLE_1)
	s_cmp_eq_u32 s37, s25
	s_cselect_b32 s35, -1, 0
	s_cmp_lg_u32 s37, s25
	s_cbranch_scc1 .LBB15_49
; %bb.46:                               ;   in Loop: Header=BB15_45 Depth=2
	s_and_not1_b32 vcc_lo, exec_lo, s36
	s_wait_alu 0xfffe
	s_cbranch_vccz .LBB15_50
.LBB15_47:                              ;   in Loop: Header=BB15_45 Depth=2
	s_wait_alu 0xfffe
	s_and_not1_b32 vcc_lo, exec_lo, s35
	s_mov_b32 s15, -1
	s_wait_alu 0xfffe
	s_cbranch_vccnz .LBB15_67
.LBB15_48:                              ;   in Loop: Header=BB15_45 Depth=2
	s_add_co_i32 s20, s20, 1
	s_add_co_i32 s34, s34, s33
	s_wait_alu 0xfffe
	s_cmp_ge_i32 s20, s26
	s_add_nc_u64 s[0:1], s[0:1], 4
	s_cselect_b32 s15, -1, 0
	s_delay_alu instid0(SALU_CYCLE_1)
	s_and_not1_b32 vcc_lo, exec_lo, s15
	s_wait_alu 0xfffe
	s_cbranch_vccnz .LBB15_68
	s_branch .LBB15_74
.LBB15_49:                              ;   in Loop: Header=BB15_45 Depth=2
	s_min_i32 s21, s37, s15
	s_cbranch_execnz .LBB15_47
.LBB15_50:                              ;   in Loop: Header=BB15_45 Depth=2
	ds_store_b32 v7, v27 offset:8192
	s_and_saveexec_b32 s21, s28
	s_cbranch_execz .LBB15_54
; %bb.51:                               ;   in Loop: Header=BB15_45 Depth=2
	s_and_b32 vcc_lo, exec_lo, s27
	s_wait_alu 0xfffe
	s_cbranch_vccz .LBB15_69
; %bb.52:                               ;   in Loop: Header=BB15_45 Depth=2
	v_add_nc_u32_e32 v6, s34, v10
	ds_load_b64 v[30:31], v22
	v_lshlrev_b64_e32 v[28:29], 3, v[6:7]
	s_delay_alu instid0(VALU_DEP_1) | instskip(SKIP_1) | instid1(VALU_DEP_2)
	v_add_co_u32 v28, vcc_lo, s10, v28
	s_wait_alu 0xfffd
	v_add_co_ci_u32_e64 v29, null, s11, v29, vcc_lo
	global_load_b64 v[28:29], v[28:29], off
	s_wait_loadcnt_dscnt 0x0
	v_fma_f64 v[28:29], v[3:4], v[28:29], v[30:31]
	ds_store_b64 v22, v[28:29]
	s_cbranch_execnz .LBB15_54
.LBB15_53:                              ;   in Loop: Header=BB15_45 Depth=2
	v_add_nc_u32_e32 v6, s34, v14
	ds_load_b64 v[30:31], v17
	v_lshlrev_b64_e32 v[28:29], 3, v[6:7]
	s_delay_alu instid0(VALU_DEP_1) | instskip(SKIP_1) | instid1(VALU_DEP_2)
	v_add_co_u32 v28, vcc_lo, s10, v28
	s_wait_alu 0xfffd
	v_add_co_ci_u32_e64 v29, null, s11, v29, vcc_lo
	global_load_b64 v[28:29], v[28:29], off
	s_wait_loadcnt_dscnt 0x0
	v_fma_f64 v[28:29], v[3:4], v[28:29], v[30:31]
	ds_store_b64 v17, v[28:29]
.LBB15_54:                              ;   in Loop: Header=BB15_45 Depth=2
	s_wait_alu 0xfffe
	s_or_b32 exec_lo, exec_lo, s21
	s_and_saveexec_b32 s21, s29
	s_cbranch_execz .LBB15_58
; %bb.55:                               ;   in Loop: Header=BB15_45 Depth=2
	s_and_not1_b32 vcc_lo, exec_lo, s27
	s_wait_alu 0xfffe
	s_cbranch_vccnz .LBB15_70
; %bb.56:                               ;   in Loop: Header=BB15_45 Depth=2
	v_add_nc_u32_e32 v6, s34, v11
	ds_load_b64 v[30:31], v24
	v_lshlrev_b64_e32 v[28:29], 3, v[6:7]
	s_delay_alu instid0(VALU_DEP_1) | instskip(SKIP_1) | instid1(VALU_DEP_2)
	v_add_co_u32 v28, vcc_lo, s10, v28
	s_wait_alu 0xfffd
	v_add_co_ci_u32_e64 v29, null, s11, v29, vcc_lo
	global_load_b64 v[28:29], v[28:29], off
	s_wait_loadcnt_dscnt 0x0
	v_fma_f64 v[28:29], v[3:4], v[28:29], v[30:31]
	ds_store_b64 v24, v[28:29]
	s_cbranch_execnz .LBB15_58
.LBB15_57:                              ;   in Loop: Header=BB15_45 Depth=2
	v_add3_u32 v6, v14, s34, 8
	ds_load_b64 v[30:31], v19
	v_lshlrev_b64_e32 v[28:29], 3, v[6:7]
	s_delay_alu instid0(VALU_DEP_1) | instskip(SKIP_1) | instid1(VALU_DEP_2)
	v_add_co_u32 v28, vcc_lo, s10, v28
	s_wait_alu 0xfffd
	v_add_co_ci_u32_e64 v29, null, s11, v29, vcc_lo
	global_load_b64 v[28:29], v[28:29], off
	s_wait_loadcnt_dscnt 0x0
	v_fma_f64 v[28:29], v[3:4], v[28:29], v[30:31]
	ds_store_b64 v19, v[28:29]
.LBB15_58:                              ;   in Loop: Header=BB15_45 Depth=2
	s_wait_alu 0xfffe
	s_or_b32 exec_lo, exec_lo, s21
	s_and_saveexec_b32 s21, s30
	s_cbranch_execz .LBB15_62
; %bb.59:                               ;   in Loop: Header=BB15_45 Depth=2
	s_and_not1_b32 vcc_lo, exec_lo, s27
	s_wait_alu 0xfffe
	s_cbranch_vccnz .LBB15_71
; %bb.60:                               ;   in Loop: Header=BB15_45 Depth=2
	v_add_nc_u32_e32 v6, s34, v12
	ds_load_b64 v[30:31], v25
	v_lshlrev_b64_e32 v[28:29], 3, v[6:7]
	s_delay_alu instid0(VALU_DEP_1) | instskip(SKIP_1) | instid1(VALU_DEP_2)
	v_add_co_u32 v28, vcc_lo, s10, v28
	s_wait_alu 0xfffd
	v_add_co_ci_u32_e64 v29, null, s11, v29, vcc_lo
	global_load_b64 v[28:29], v[28:29], off
	s_wait_loadcnt_dscnt 0x0
	v_fma_f64 v[28:29], v[3:4], v[28:29], v[30:31]
	ds_store_b64 v25, v[28:29]
	s_cbranch_execnz .LBB15_62
.LBB15_61:                              ;   in Loop: Header=BB15_45 Depth=2
	v_add3_u32 v6, v14, s34, 16
	ds_load_b64 v[30:31], v20
	v_lshlrev_b64_e32 v[28:29], 3, v[6:7]
	s_delay_alu instid0(VALU_DEP_1) | instskip(SKIP_1) | instid1(VALU_DEP_2)
	v_add_co_u32 v28, vcc_lo, s10, v28
	s_wait_alu 0xfffd
	v_add_co_ci_u32_e64 v29, null, s11, v29, vcc_lo
	global_load_b64 v[28:29], v[28:29], off
	s_wait_loadcnt_dscnt 0x0
	v_fma_f64 v[28:29], v[3:4], v[28:29], v[30:31]
	ds_store_b64 v20, v[28:29]
.LBB15_62:                              ;   in Loop: Header=BB15_45 Depth=2
	s_wait_alu 0xfffe
	s_or_b32 exec_lo, exec_lo, s21
	s_and_saveexec_b32 s21, s31
	s_cbranch_execz .LBB15_66
; %bb.63:                               ;   in Loop: Header=BB15_45 Depth=2
	s_and_not1_b32 vcc_lo, exec_lo, s27
	s_wait_alu 0xfffe
	s_cbranch_vccnz .LBB15_72
; %bb.64:                               ;   in Loop: Header=BB15_45 Depth=2
	v_add_nc_u32_e32 v6, s34, v13
	ds_load_b64 v[30:31], v26
	v_lshlrev_b64_e32 v[28:29], 3, v[6:7]
	s_delay_alu instid0(VALU_DEP_1) | instskip(SKIP_1) | instid1(VALU_DEP_2)
	v_add_co_u32 v28, vcc_lo, s10, v28
	s_wait_alu 0xfffd
	v_add_co_ci_u32_e64 v29, null, s11, v29, vcc_lo
	global_load_b64 v[28:29], v[28:29], off
	s_wait_loadcnt_dscnt 0x0
	v_fma_f64 v[28:29], v[3:4], v[28:29], v[30:31]
	ds_store_b64 v26, v[28:29]
	s_cbranch_execnz .LBB15_66
.LBB15_65:                              ;   in Loop: Header=BB15_45 Depth=2
	v_add3_u32 v6, v14, s34, 24
	ds_load_b64 v[30:31], v21
	v_lshlrev_b64_e32 v[28:29], 3, v[6:7]
	s_delay_alu instid0(VALU_DEP_1) | instskip(SKIP_1) | instid1(VALU_DEP_2)
	v_add_co_u32 v28, vcc_lo, s10, v28
	s_wait_alu 0xfffd
	v_add_co_ci_u32_e64 v29, null, s11, v29, vcc_lo
	global_load_b64 v[28:29], v[28:29], off
	s_wait_loadcnt_dscnt 0x0
	v_fma_f64 v[28:29], v[3:4], v[28:29], v[30:31]
	ds_store_b64 v21, v[28:29]
.LBB15_66:                              ;   in Loop: Header=BB15_45 Depth=2
	s_wait_alu 0xfffe
	s_or_b32 exec_lo, exec_lo, s21
	s_mov_b32 s21, s15
	s_and_not1_b32 vcc_lo, exec_lo, s35
	s_mov_b32 s15, -1
	s_wait_alu 0xfffe
	s_cbranch_vccz .LBB15_48
.LBB15_67:                              ;   in Loop: Header=BB15_45 Depth=2
                                        ; implicit-def: $sgpr34
                                        ; implicit-def: $sgpr0_sgpr1
	s_and_not1_b32 vcc_lo, exec_lo, s15
	s_wait_alu 0xfffe
	s_cbranch_vccz .LBB15_74
.LBB15_68:                              ;   in Loop: Header=BB15_45 Depth=2
	s_mov_b32 s15, s21
	s_branch .LBB15_45
.LBB15_69:                              ;   in Loop: Header=BB15_45 Depth=2
	s_branch .LBB15_53
.LBB15_70:                              ;   in Loop: Header=BB15_45 Depth=2
	s_branch .LBB15_57
.LBB15_71:                              ;   in Loop: Header=BB15_45 Depth=2
	s_branch .LBB15_61
.LBB15_72:                              ;   in Loop: Header=BB15_45 Depth=2
	s_branch .LBB15_65
.LBB15_73:                              ;   in Loop: Header=BB15_12 Depth=1
	s_mov_b32 s21, s15
.LBB15_74:                              ;   in Loop: Header=BB15_12 Depth=1
	s_wait_loadcnt_dscnt 0x0
	s_barrier_signal -1
	s_barrier_wait -1
	global_inv scope:SCOPE_SE
	ds_load_b32 v6, v7 offset:8192
	s_wait_dscnt 0x0
	v_cmp_eq_u32_e32 vcc_lo, 0, v6
	s_cbranch_vccnz .LBB15_11
; %bb.75:                               ;   in Loop: Header=BB15_12 Depth=1
	s_mul_i32 s0, s24, s3
	s_add_co_i32 s1, s25, s6
	s_wait_alu 0xfffe
	v_add_nc_u32_e32 v6, s0, v5
	s_ashr_i32 s25, s24, 31
	s_delay_alu instid0(SALU_CYCLE_1)
	s_lshl_b64 s[34:35], s[24:25], 2
	s_wait_alu 0xfffe
	s_add_nc_u64 s[34:35], s[22:23], s[34:35]
	v_mul_lo_u32 v10, v6, s3
	v_mov_b32_e32 v6, s1
	global_store_b32 v7, v6, s[34:35]
	s_and_saveexec_b32 s1, s28
	s_cbranch_execnz .LBB15_79
; %bb.76:                               ;   in Loop: Header=BB15_12 Depth=1
	s_wait_alu 0xfffe
	s_or_b32 exec_lo, exec_lo, s1
	s_and_saveexec_b32 s1, s29
	s_cbranch_execnz .LBB15_83
.LBB15_77:                              ;   in Loop: Header=BB15_12 Depth=1
	s_wait_alu 0xfffe
	s_or_b32 exec_lo, exec_lo, s1
	s_and_saveexec_b32 s1, s30
	s_cbranch_execnz .LBB15_87
.LBB15_78:                              ;   in Loop: Header=BB15_12 Depth=1
	s_wait_alu 0xfffe
	s_or_b32 exec_lo, exec_lo, s1
	s_and_saveexec_b32 s1, s31
	s_cbranch_execz .LBB15_10
	s_branch .LBB15_91
.LBB15_79:                              ;   in Loop: Header=BB15_12 Depth=1
	s_and_b32 vcc_lo, exec_lo, s27
	s_wait_alu 0xfffe
	s_cbranch_vccz .LBB15_93
; %bb.80:                               ;   in Loop: Header=BB15_12 Depth=1
	v_add_nc_u32_e32 v6, s0, v0
	s_delay_alu instid0(VALU_DEP_1) | instskip(NEXT) | instid1(VALU_DEP_1)
	v_mad_co_u64_u32 v[11:12], null, v6, s3, v[5:6]
	v_dual_mov_b32 v6, v11 :: v_dual_mov_b32 v11, v22
	s_cbranch_execnz .LBB15_82
.LBB15_81:                              ;   in Loop: Header=BB15_12 Depth=1
	v_dual_mov_b32 v11, v17 :: v_dual_add_nc_u32 v6, v10, v0
.LBB15_82:                              ;   in Loop: Header=BB15_12 Depth=1
	ds_load_b64 v[11:12], v11
	v_lshlrev_b64_e32 v[13:14], 3, v[6:7]
	s_delay_alu instid0(VALU_DEP_1) | instskip(SKIP_1) | instid1(VALU_DEP_2)
	v_add_co_u32 v13, vcc_lo, s16, v13
	s_wait_alu 0xfffd
	v_add_co_ci_u32_e64 v14, null, s17, v14, vcc_lo
	s_wait_dscnt 0x0
	global_store_b64 v[13:14], v[11:12], off
	s_or_b32 exec_lo, exec_lo, s1
	s_and_saveexec_b32 s1, s29
	s_cbranch_execz .LBB15_77
.LBB15_83:                              ;   in Loop: Header=BB15_12 Depth=1
	s_and_not1_b32 vcc_lo, exec_lo, s27
	s_wait_alu 0xfffe
	s_cbranch_vccnz .LBB15_94
; %bb.84:                               ;   in Loop: Header=BB15_12 Depth=1
	v_add_nc_u32_e32 v6, s0, v16
	s_delay_alu instid0(VALU_DEP_1) | instskip(NEXT) | instid1(VALU_DEP_1)
	v_mad_co_u64_u32 v[11:12], null, v6, s3, v[5:6]
	v_dual_mov_b32 v6, v11 :: v_dual_mov_b32 v11, v24
	s_cbranch_execnz .LBB15_86
.LBB15_85:                              ;   in Loop: Header=BB15_12 Depth=1
	v_dual_mov_b32 v11, v19 :: v_dual_add_nc_u32 v6, v10, v16
.LBB15_86:                              ;   in Loop: Header=BB15_12 Depth=1
	ds_load_b64 v[11:12], v11
	v_lshlrev_b64_e32 v[13:14], 3, v[6:7]
	s_delay_alu instid0(VALU_DEP_1) | instskip(SKIP_1) | instid1(VALU_DEP_2)
	v_add_co_u32 v13, vcc_lo, s16, v13
	s_wait_alu 0xfffd
	v_add_co_ci_u32_e64 v14, null, s17, v14, vcc_lo
	s_wait_dscnt 0x0
	global_store_b64 v[13:14], v[11:12], off
	s_or_b32 exec_lo, exec_lo, s1
	s_and_saveexec_b32 s1, s30
	s_cbranch_execz .LBB15_78
.LBB15_87:                              ;   in Loop: Header=BB15_12 Depth=1
	s_and_not1_b32 vcc_lo, exec_lo, s27
	s_wait_alu 0xfffe
	s_cbranch_vccnz .LBB15_95
; %bb.88:                               ;   in Loop: Header=BB15_12 Depth=1
	v_add_nc_u32_e32 v6, s0, v18
	s_delay_alu instid0(VALU_DEP_1) | instskip(NEXT) | instid1(VALU_DEP_1)
	v_mad_co_u64_u32 v[11:12], null, v6, s3, v[5:6]
	v_dual_mov_b32 v6, v11 :: v_dual_mov_b32 v11, v25
	s_cbranch_execnz .LBB15_90
.LBB15_89:                              ;   in Loop: Header=BB15_12 Depth=1
	v_dual_mov_b32 v11, v20 :: v_dual_add_nc_u32 v6, v10, v18
.LBB15_90:                              ;   in Loop: Header=BB15_12 Depth=1
	ds_load_b64 v[11:12], v11
	v_lshlrev_b64_e32 v[13:14], 3, v[6:7]
	s_delay_alu instid0(VALU_DEP_1) | instskip(SKIP_1) | instid1(VALU_DEP_2)
	v_add_co_u32 v13, vcc_lo, s16, v13
	s_wait_alu 0xfffd
	v_add_co_ci_u32_e64 v14, null, s17, v14, vcc_lo
	s_wait_dscnt 0x0
	global_store_b64 v[13:14], v[11:12], off
	s_or_b32 exec_lo, exec_lo, s1
	s_and_saveexec_b32 s1, s31
	s_cbranch_execz .LBB15_10
.LBB15_91:                              ;   in Loop: Header=BB15_12 Depth=1
	s_and_not1_b32 vcc_lo, exec_lo, s27
	s_wait_alu 0xfffe
	s_cbranch_vccnz .LBB15_96
; %bb.92:                               ;   in Loop: Header=BB15_12 Depth=1
	v_add_nc_u32_e32 v6, s0, v23
	s_delay_alu instid0(VALU_DEP_1) | instskip(NEXT) | instid1(VALU_DEP_1)
	v_mad_co_u64_u32 v[11:12], null, v6, s3, v[5:6]
	v_dual_mov_b32 v6, v11 :: v_dual_mov_b32 v11, v26
	s_cbranch_execnz .LBB15_9
	s_branch .LBB15_97
.LBB15_93:                              ;   in Loop: Header=BB15_12 Depth=1
	v_mov_b32_e32 v11, v22
	s_branch .LBB15_81
.LBB15_94:                              ;   in Loop: Header=BB15_12 Depth=1
	v_mov_b32_e32 v11, v24
	s_branch .LBB15_85
.LBB15_95:                              ;   in Loop: Header=BB15_12 Depth=1
	v_mov_b32_e32 v11, v25
	s_branch .LBB15_89
.LBB15_96:                              ;   in Loop: Header=BB15_12 Depth=1
	v_mov_b32_e32 v11, v26
.LBB15_97:                              ;   in Loop: Header=BB15_12 Depth=1
	v_dual_mov_b32 v11, v21 :: v_dual_add_nc_u32 v6, v10, v23
	s_branch .LBB15_9
.LBB15_98:
	s_endpgm
	.section	.rodata,"a",@progbits
	.p2align	6, 0x0
	.amdhsa_kernel _ZN9rocsparseL39bsrgeam_block_per_row_multipass_kernel2ILj256ELj32EdEEv20rocsparse_direction_iiiNS_24const_host_device_scalarIT1_EEPKiS6_PKS3_S4_S6_S6_S8_S6_PiPS3_21rocsparse_index_base_SB_SB_b
		.amdhsa_group_segment_fixed_size 8200
		.amdhsa_private_segment_fixed_size 0
		.amdhsa_kernarg_size 120
		.amdhsa_user_sgpr_count 2
		.amdhsa_user_sgpr_dispatch_ptr 0
		.amdhsa_user_sgpr_queue_ptr 0
		.amdhsa_user_sgpr_kernarg_segment_ptr 1
		.amdhsa_user_sgpr_dispatch_id 0
		.amdhsa_user_sgpr_private_segment_size 0
		.amdhsa_wavefront_size32 1
		.amdhsa_uses_dynamic_stack 0
		.amdhsa_enable_private_segment 0
		.amdhsa_system_sgpr_workgroup_id_x 1
		.amdhsa_system_sgpr_workgroup_id_y 0
		.amdhsa_system_sgpr_workgroup_id_z 0
		.amdhsa_system_sgpr_workgroup_info 0
		.amdhsa_system_vgpr_workitem_id 0
		.amdhsa_next_free_vgpr 32
		.amdhsa_next_free_sgpr 38
		.amdhsa_reserve_vcc 1
		.amdhsa_float_round_mode_32 0
		.amdhsa_float_round_mode_16_64 0
		.amdhsa_float_denorm_mode_32 3
		.amdhsa_float_denorm_mode_16_64 3
		.amdhsa_fp16_overflow 0
		.amdhsa_workgroup_processor_mode 1
		.amdhsa_memory_ordered 1
		.amdhsa_forward_progress 1
		.amdhsa_inst_pref_size 27
		.amdhsa_round_robin_scheduling 0
		.amdhsa_exception_fp_ieee_invalid_op 0
		.amdhsa_exception_fp_denorm_src 0
		.amdhsa_exception_fp_ieee_div_zero 0
		.amdhsa_exception_fp_ieee_overflow 0
		.amdhsa_exception_fp_ieee_underflow 0
		.amdhsa_exception_fp_ieee_inexact 0
		.amdhsa_exception_int_div_zero 0
	.end_amdhsa_kernel
	.section	.text._ZN9rocsparseL39bsrgeam_block_per_row_multipass_kernel2ILj256ELj32EdEEv20rocsparse_direction_iiiNS_24const_host_device_scalarIT1_EEPKiS6_PKS3_S4_S6_S6_S8_S6_PiPS3_21rocsparse_index_base_SB_SB_b,"axG",@progbits,_ZN9rocsparseL39bsrgeam_block_per_row_multipass_kernel2ILj256ELj32EdEEv20rocsparse_direction_iiiNS_24const_host_device_scalarIT1_EEPKiS6_PKS3_S4_S6_S6_S8_S6_PiPS3_21rocsparse_index_base_SB_SB_b,comdat
.Lfunc_end15:
	.size	_ZN9rocsparseL39bsrgeam_block_per_row_multipass_kernel2ILj256ELj32EdEEv20rocsparse_direction_iiiNS_24const_host_device_scalarIT1_EEPKiS6_PKS3_S4_S6_S6_S8_S6_PiPS3_21rocsparse_index_base_SB_SB_b, .Lfunc_end15-_ZN9rocsparseL39bsrgeam_block_per_row_multipass_kernel2ILj256ELj32EdEEv20rocsparse_direction_iiiNS_24const_host_device_scalarIT1_EEPKiS6_PKS3_S4_S6_S6_S8_S6_PiPS3_21rocsparse_index_base_SB_SB_b
                                        ; -- End function
	.set _ZN9rocsparseL39bsrgeam_block_per_row_multipass_kernel2ILj256ELj32EdEEv20rocsparse_direction_iiiNS_24const_host_device_scalarIT1_EEPKiS6_PKS3_S4_S6_S6_S8_S6_PiPS3_21rocsparse_index_base_SB_SB_b.num_vgpr, 32
	.set _ZN9rocsparseL39bsrgeam_block_per_row_multipass_kernel2ILj256ELj32EdEEv20rocsparse_direction_iiiNS_24const_host_device_scalarIT1_EEPKiS6_PKS3_S4_S6_S6_S8_S6_PiPS3_21rocsparse_index_base_SB_SB_b.num_agpr, 0
	.set _ZN9rocsparseL39bsrgeam_block_per_row_multipass_kernel2ILj256ELj32EdEEv20rocsparse_direction_iiiNS_24const_host_device_scalarIT1_EEPKiS6_PKS3_S4_S6_S6_S8_S6_PiPS3_21rocsparse_index_base_SB_SB_b.numbered_sgpr, 38
	.set _ZN9rocsparseL39bsrgeam_block_per_row_multipass_kernel2ILj256ELj32EdEEv20rocsparse_direction_iiiNS_24const_host_device_scalarIT1_EEPKiS6_PKS3_S4_S6_S6_S8_S6_PiPS3_21rocsparse_index_base_SB_SB_b.num_named_barrier, 0
	.set _ZN9rocsparseL39bsrgeam_block_per_row_multipass_kernel2ILj256ELj32EdEEv20rocsparse_direction_iiiNS_24const_host_device_scalarIT1_EEPKiS6_PKS3_S4_S6_S6_S8_S6_PiPS3_21rocsparse_index_base_SB_SB_b.private_seg_size, 0
	.set _ZN9rocsparseL39bsrgeam_block_per_row_multipass_kernel2ILj256ELj32EdEEv20rocsparse_direction_iiiNS_24const_host_device_scalarIT1_EEPKiS6_PKS3_S4_S6_S6_S8_S6_PiPS3_21rocsparse_index_base_SB_SB_b.uses_vcc, 1
	.set _ZN9rocsparseL39bsrgeam_block_per_row_multipass_kernel2ILj256ELj32EdEEv20rocsparse_direction_iiiNS_24const_host_device_scalarIT1_EEPKiS6_PKS3_S4_S6_S6_S8_S6_PiPS3_21rocsparse_index_base_SB_SB_b.uses_flat_scratch, 0
	.set _ZN9rocsparseL39bsrgeam_block_per_row_multipass_kernel2ILj256ELj32EdEEv20rocsparse_direction_iiiNS_24const_host_device_scalarIT1_EEPKiS6_PKS3_S4_S6_S6_S8_S6_PiPS3_21rocsparse_index_base_SB_SB_b.has_dyn_sized_stack, 0
	.set _ZN9rocsparseL39bsrgeam_block_per_row_multipass_kernel2ILj256ELj32EdEEv20rocsparse_direction_iiiNS_24const_host_device_scalarIT1_EEPKiS6_PKS3_S4_S6_S6_S8_S6_PiPS3_21rocsparse_index_base_SB_SB_b.has_recursion, 0
	.set _ZN9rocsparseL39bsrgeam_block_per_row_multipass_kernel2ILj256ELj32EdEEv20rocsparse_direction_iiiNS_24const_host_device_scalarIT1_EEPKiS6_PKS3_S4_S6_S6_S8_S6_PiPS3_21rocsparse_index_base_SB_SB_b.has_indirect_call, 0
	.section	.AMDGPU.csdata,"",@progbits
; Kernel info:
; codeLenInByte = 3332
; TotalNumSgprs: 40
; NumVgprs: 32
; ScratchSize: 0
; MemoryBound: 0
; FloatMode: 240
; IeeeMode: 1
; LDSByteSize: 8200 bytes/workgroup (compile time only)
; SGPRBlocks: 0
; VGPRBlocks: 3
; NumSGPRsForWavesPerEU: 40
; NumVGPRsForWavesPerEU: 32
; Occupancy: 16
; WaveLimiterHint : 1
; COMPUTE_PGM_RSRC2:SCRATCH_EN: 0
; COMPUTE_PGM_RSRC2:USER_SGPR: 2
; COMPUTE_PGM_RSRC2:TRAP_HANDLER: 0
; COMPUTE_PGM_RSRC2:TGID_X_EN: 1
; COMPUTE_PGM_RSRC2:TGID_Y_EN: 0
; COMPUTE_PGM_RSRC2:TGID_Z_EN: 0
; COMPUTE_PGM_RSRC2:TIDIG_COMP_CNT: 0
	.section	.text._ZN9rocsparseL39bsrgeam_wf_per_row_multipass_2_3_kernelILj256ELj2ELj32E21rocsparse_complex_numIfEEEv20rocsparse_direction_iiiNS_24const_host_device_scalarIT2_EEPKiS8_PKS5_S6_S8_S8_SA_S8_PiPS5_21rocsparse_index_base_SD_SD_b,"axG",@progbits,_ZN9rocsparseL39bsrgeam_wf_per_row_multipass_2_3_kernelILj256ELj2ELj32E21rocsparse_complex_numIfEEEv20rocsparse_direction_iiiNS_24const_host_device_scalarIT2_EEPKiS8_PKS5_S6_S8_S8_SA_S8_PiPS5_21rocsparse_index_base_SD_SD_b,comdat
	.globl	_ZN9rocsparseL39bsrgeam_wf_per_row_multipass_2_3_kernelILj256ELj2ELj32E21rocsparse_complex_numIfEEEv20rocsparse_direction_iiiNS_24const_host_device_scalarIT2_EEPKiS8_PKS5_S6_S8_S8_SA_S8_PiPS5_21rocsparse_index_base_SD_SD_b ; -- Begin function _ZN9rocsparseL39bsrgeam_wf_per_row_multipass_2_3_kernelILj256ELj2ELj32E21rocsparse_complex_numIfEEEv20rocsparse_direction_iiiNS_24const_host_device_scalarIT2_EEPKiS8_PKS5_S6_S8_S8_SA_S8_PiPS5_21rocsparse_index_base_SD_SD_b
	.p2align	8
	.type	_ZN9rocsparseL39bsrgeam_wf_per_row_multipass_2_3_kernelILj256ELj2ELj32E21rocsparse_complex_numIfEEEv20rocsparse_direction_iiiNS_24const_host_device_scalarIT2_EEPKiS8_PKS5_S6_S8_S8_SA_S8_PiPS5_21rocsparse_index_base_SD_SD_b,@function
_ZN9rocsparseL39bsrgeam_wf_per_row_multipass_2_3_kernelILj256ELj2ELj32E21rocsparse_complex_numIfEEEv20rocsparse_direction_iiiNS_24const_host_device_scalarIT2_EEPKiS8_PKS5_S6_S8_S8_SA_S8_PiPS5_21rocsparse_index_base_SD_SD_b: ; @_ZN9rocsparseL39bsrgeam_wf_per_row_multipass_2_3_kernelILj256ELj2ELj32E21rocsparse_complex_numIfEEEv20rocsparse_direction_iiiNS_24const_host_device_scalarIT2_EEPKiS8_PKS5_S6_S8_S8_SA_S8_PiPS5_21rocsparse_index_base_SD_SD_b
; %bb.0:
	s_clause 0x2
	s_load_b128 s[4:7], s[0:1], 0x68
	s_load_b64 s[2:3], s[0:1], 0x10
	s_load_b64 s[26:27], s[0:1], 0x30
	s_wait_kmcnt 0x0
	s_bitcmp1_b32 s7, 0
	s_cselect_b32 s7, -1, 0
	s_delay_alu instid0(SALU_CYCLE_1)
	s_xor_b32 s8, s7, -1
	s_and_b32 vcc_lo, exec_lo, s7
	s_mov_b32 s7, s2
	s_cbranch_vccz .LBB16_41
; %bb.1:
	v_cndmask_b32_e64 v1, 0, 1, s8
	s_and_not1_b32 vcc_lo, exec_lo, s8
	s_cbranch_vccz .LBB16_42
.LBB16_2:
	s_delay_alu instid0(VALU_DEP_1)
	v_cmp_ne_u32_e32 vcc_lo, 1, v1
	s_mov_b32 s2, s26
	s_cbranch_vccz .LBB16_43
.LBB16_3:
	v_cmp_ne_u32_e32 vcc_lo, 1, v1
	s_cbranch_vccnz .LBB16_5
.LBB16_4:
	s_load_b32 s27, s[26:27], 0x4
.LBB16_5:
	s_load_b96 s[24:26], s[0:1], 0x0
	v_lshrrev_b32_e32 v7, 5, v0
	s_lshl_b32 s8, ttmp9, 3
	s_wait_alu 0xfffe
	s_delay_alu instid0(VALU_DEP_1) | instskip(SKIP_2) | instid1(VALU_DEP_1)
	v_and_or_b32 v1, 0x7fffff8, s8, v7
	s_mov_b32 s8, exec_lo
	s_wait_kmcnt 0x0
	v_cmpx_gt_i32_e64 s25, v1
	s_cbranch_execz .LBB16_40
; %bb.6:
	s_clause 0x2
	s_load_b128 s[8:11], s[0:1], 0x18
	s_load_b128 s[12:15], s[0:1], 0x38
	s_load_b64 s[16:17], s[0:1], 0x50
	v_lshlrev_b32_e32 v3, 2, v1
	s_wait_kmcnt 0x0
	s_clause 0x2
	global_load_b64 v[1:2], v3, s[8:9]
	global_load_b64 v[5:6], v3, s[12:13]
	global_load_b32 v8, v3, s[16:17]
	s_wait_loadcnt 0x2
	v_subrev_nc_u32_e32 v3, s4, v1
	v_cmp_lt_i32_e32 vcc_lo, v1, v2
	v_mov_b32_e32 v1, s26
	s_and_saveexec_b32 s8, vcc_lo
	s_cbranch_execz .LBB16_8
; %bb.7:
	v_ashrrev_i32_e32 v4, 31, v3
	s_delay_alu instid0(VALU_DEP_1) | instskip(NEXT) | instid1(VALU_DEP_1)
	v_lshlrev_b64_e32 v[9:10], 2, v[3:4]
	v_add_co_u32 v9, vcc_lo, s10, v9
	s_delay_alu instid0(VALU_DEP_1)
	v_add_co_ci_u32_e64 v10, null, s11, v10, vcc_lo
	global_load_b32 v1, v[9:10], off
	s_wait_loadcnt 0x0
	v_subrev_nc_u32_e32 v1, s4, v1
.LBB16_8:
	s_wait_alu 0xfffe
	s_or_b32 exec_lo, exec_lo, s8
	s_clause 0x2
	s_load_b128 s[16:19], s[0:1], 0x58
	s_load_b64 s[8:9], s[0:1], 0x28
	s_load_b64 s[12:13], s[0:1], 0x48
	s_wait_loadcnt 0x1
	v_subrev_nc_u32_e32 v4, s5, v5
	v_cmp_lt_i32_e32 vcc_lo, v5, v6
	v_mov_b32_e32 v5, s26
	s_and_saveexec_b32 s0, vcc_lo
	s_cbranch_execz .LBB16_10
; %bb.9:
	v_ashrrev_i32_e32 v5, 31, v4
	s_delay_alu instid0(VALU_DEP_1) | instskip(NEXT) | instid1(VALU_DEP_1)
	v_lshlrev_b64_e32 v[9:10], 2, v[4:5]
	v_add_co_u32 v9, vcc_lo, s14, v9
	s_wait_alu 0xfffd
	s_delay_alu instid0(VALU_DEP_2)
	v_add_co_ci_u32_e64 v10, null, s15, v10, vcc_lo
	global_load_b32 v5, v[9:10], off
	s_wait_loadcnt 0x0
	v_subrev_nc_u32_e32 v5, s5, v5
.LBB16_10:
	s_or_b32 exec_lo, exec_lo, s0
	s_movk_i32 s0, 0xe0
	s_delay_alu instid0(VALU_DEP_1)
	v_min_i32_e32 v24, v5, v1
	v_and_or_b32 v17, v0, s0, 0x2000
	v_mbcnt_lo_u32_b32 v1, -1, 0
	v_and_b32_e32 v0, 31, v0
	v_subrev_nc_u32_e32 v19, s5, v6
	s_wait_loadcnt 0x0
	v_subrev_nc_u32_e32 v20, s6, v8
	v_subrev_nc_u32_e32 v18, s4, v2
	v_xor_b32_e32 v6, 1, v1
	v_add_nc_u32_e32 v8, v3, v0
	v_xor_b32_e32 v3, 16, v1
	v_xor_b32_e32 v5, 2, v1
	s_cmp_lg_u32 s24, 0
	s_mov_b32 s20, 0
	s_cselect_b32 s1, -1, 0
	v_cmp_gt_i32_e32 vcc_lo, 32, v3
	s_cmp_eq_u32 s24, 0
	s_mov_b32 s21, s20
	s_cselect_b32 s0, 8, 16
	s_mov_b32 s22, s20
	s_wait_alu 0xfffd
	v_cndmask_b32_e32 v3, v1, v3, vcc_lo
	v_xor_b32_e32 v2, 31, v0
	v_dual_mov_b32 v13, 0 :: v_dual_add_nc_u32 v10, v4, v0
	v_xor_b32_e32 v4, 4, v1
	s_mov_b32 s23, s20
	s_delay_alu instid0(VALU_DEP_3) | instskip(SKIP_3) | instid1(VALU_DEP_3)
	v_lshrrev_b32_e64 v22, v2, -1
	v_xor_b32_e32 v2, 8, v1
	v_dual_mov_b32 v31, 1 :: v_dual_add_nc_u32 v30, v17, v0
	v_lshlrev_b32_e32 v25, 2, v3
	v_cmp_gt_i32_e32 vcc_lo, 32, v2
	v_add_nc_u32_e32 v23, s6, v0
	s_cselect_b32 s6, 16, 8
	s_wait_alu 0xfffd
	v_cndmask_b32_e32 v2, v1, v2, vcc_lo
	v_cmp_gt_i32_e32 vcc_lo, 32, v4
	s_delay_alu instid0(VALU_DEP_2) | instskip(SKIP_4) | instid1(VALU_DEP_3)
	v_lshlrev_b32_e32 v26, 2, v2
	s_wait_alu 0xfffd
	v_cndmask_b32_e32 v4, v1, v4, vcc_lo
	v_cmp_gt_i32_e32 vcc_lo, 32, v5
	v_lshlrev_b32_e32 v16, 10, v7
	v_lshlrev_b32_e32 v27, 2, v4
	s_wait_alu 0xfffd
	v_cndmask_b32_e32 v5, v1, v5, vcc_lo
	v_cmp_gt_i32_e32 vcc_lo, 32, v6
	v_lshl_or_b32 v21, v0, 5, v16
	s_wait_alu 0xfffd
	s_delay_alu instid0(VALU_DEP_3) | instskip(SKIP_1) | instid1(VALU_DEP_2)
	v_dual_cndmask_b32 v1, v1, v6 :: v_dual_lshlrev_b32 v28, 2, v5
	s_wait_alu 0xfffe
	v_add_nc_u32_e32 v32, s0, v21
	v_add_nc_u32_e32 v33, s6, v21
	s_delay_alu instid0(VALU_DEP_3)
	v_dual_mov_b32 v0, s20 :: v_dual_lshlrev_b32 v29, 2, v1
	v_dual_mov_b32 v1, s21 :: v_dual_mov_b32 v2, s22
	v_mov_b32_e32 v3, s23
	s_branch .LBB16_12
.LBB16_11:                              ;   in Loop: Header=BB16_12 Depth=1
	s_wait_alu 0xfffe
	s_or_b32 exec_lo, exec_lo, s6
	ds_bpermute_b32 v4, v25, v34
	s_bcnt1_i32_b32 s6, vcc_lo
	s_wait_alu 0xfffe
	v_add_nc_u32_e32 v20, s6, v20
	s_wait_dscnt 0x0
	v_min_i32_e32 v4, v4, v34
	ds_bpermute_b32 v5, v26, v4
	s_wait_dscnt 0x0
	v_min_i32_e32 v4, v5, v4
	ds_bpermute_b32 v5, v27, v4
	;; [unrolled: 3-line block ×4, first 2 shown]
	s_wait_dscnt 0x0
	v_min_i32_e32 v24, v5, v4
	s_delay_alu instid0(VALU_DEP_1)
	v_cmp_le_i32_e64 s0, s26, v24
	s_or_b32 s20, s0, s20
	s_wait_alu 0xfffe
	s_and_not1_b32 exec_lo, exec_lo, s20
	s_cbranch_execz .LBB16_40
.LBB16_12:                              ; =>This Loop Header: Depth=1
                                        ;     Child Loop BB16_15 Depth 2
                                        ;     Child Loop BB16_28 Depth 2
	v_mov_b32_e32 v34, s26
	s_mov_b32 s6, exec_lo
	ds_store_b8 v30, v13
	ds_store_b128 v21, v[0:3]
	ds_store_b128 v21, v[0:3] offset:16
	s_wait_dscnt 0x0
	global_inv scope:SCOPE_SE
	v_cmpx_lt_i32_e64 v8, v18
	s_cbranch_execz .LBB16_25
; %bb.13:                               ;   in Loop: Header=BB16_12 Depth=1
	v_lshlrev_b32_e32 v12, 2, v8
	v_mov_b32_e32 v34, s26
	s_mov_b32 s21, 0
	s_branch .LBB16_15
.LBB16_14:                              ;   in Loop: Header=BB16_15 Depth=2
	s_wait_alu 0xfffe
	s_or_b32 exec_lo, exec_lo, s23
	s_delay_alu instid0(SALU_CYCLE_1)
	s_and_b32 s0, exec_lo, s22
	s_wait_alu 0xfffe
	s_or_b32 s21, s0, s21
	s_wait_alu 0xfffe
	s_and_not1_b32 exec_lo, exec_lo, s21
	s_cbranch_execz .LBB16_24
.LBB16_15:                              ;   Parent Loop BB16_12 Depth=1
                                        ; =>  This Inner Loop Header: Depth=2
	v_ashrrev_i32_e32 v9, 31, v8
	s_mov_b32 s22, exec_lo
	s_delay_alu instid0(VALU_DEP_1) | instskip(NEXT) | instid1(VALU_DEP_1)
	v_lshlrev_b64_e32 v[4:5], 2, v[8:9]
	v_add_co_u32 v4, vcc_lo, s10, v4
	s_wait_alu 0xfffd
	s_delay_alu instid0(VALU_DEP_2) | instskip(SKIP_3) | instid1(VALU_DEP_1)
	v_add_co_ci_u32_e64 v5, null, s11, v5, vcc_lo
	global_load_b32 v4, v[4:5], off
	s_wait_loadcnt 0x0
	v_subrev_nc_u32_e32 v4, s4, v4
	v_sub_nc_u32_e32 v6, v4, v24
	s_delay_alu instid0(VALU_DEP_1)
	v_cmp_gt_u32_e64 s0, 32, v6
	v_cmpx_lt_u32_e32 31, v6
	s_wait_alu 0xfffe
	s_xor_b32 s22, exec_lo, s22
; %bb.16:                               ;   in Loop: Header=BB16_15 Depth=2
	v_min_i32_e32 v34, v4, v34
                                        ; implicit-def: $vgpr6
; %bb.17:                               ;   in Loop: Header=BB16_15 Depth=2
	s_wait_alu 0xfffe
	s_and_not1_saveexec_b32 s22, s22
	s_cbranch_execz .LBB16_22
; %bb.18:                               ;   in Loop: Header=BB16_15 Depth=2
	v_lshlrev_b64_e32 v[4:5], 3, v[12:13]
	v_add_nc_u32_e32 v9, v17, v6
	s_mov_b32 s23, -1
	s_wait_kmcnt 0x0
	s_delay_alu instid0(VALU_DEP_2)
	v_add_co_u32 v4, vcc_lo, s8, v4
	s_wait_alu 0xfffd
	v_add_co_ci_u32_e64 v5, null, s9, v5, vcc_lo
	s_and_not1_b32 vcc_lo, exec_lo, s1
	global_load_b64 v[14:15], v[4:5], off
	s_wait_loadcnt 0x0
	v_dual_mul_f32 v36, s7, v15 :: v_dual_lshlrev_b32 v7, 5, v6
	v_mul_f32_e64 v35, v15, -s3
	s_delay_alu instid0(VALU_DEP_2) | instskip(NEXT) | instid1(VALU_DEP_3)
	v_add_nc_u32_e32 v6, v16, v7
	v_fmac_f32_e32 v36, s3, v14
	s_delay_alu instid0(VALU_DEP_3)
	v_fmac_f32_e32 v35, s7, v14
	ds_store_b8 v9, v31
	ds_store_b64 v6, v[35:36]
	s_wait_alu 0xfffe
	s_cbranch_vccnz .LBB16_20
; %bb.19:                               ;   in Loop: Header=BB16_15 Depth=2
	s_clause 0x1
	global_load_b128 v[35:38], v[4:5], off offset:8
	global_load_b64 v[14:15], v[4:5], off offset:24
	s_mov_b32 s23, 0
	s_wait_loadcnt 0x1
	v_mul_f32_e64 v39, v38, -s3
	v_mul_f32_e32 v40, s7, v38
	v_mul_f32_e64 v41, v36, -s3
	v_mul_f32_e32 v42, s7, v36
	s_wait_loadcnt 0x0
	v_mul_f32_e64 v43, v15, -s3
	v_dual_mul_f32 v44, s7, v15 :: v_dual_fmac_f32 v39, s7, v37
	v_dual_fmac_f32 v40, s3, v37 :: v_dual_fmac_f32 v41, s7, v35
	s_delay_alu instid0(VALU_DEP_3) | instskip(NEXT) | instid1(VALU_DEP_3)
	v_dual_fmac_f32 v42, s3, v35 :: v_dual_fmac_f32 v43, s7, v14
	v_fmac_f32_e32 v44, s3, v14
	ds_store_2addr_b64 v6, v[39:40], v[41:42] offset0:1 offset1:2
	ds_store_b64 v6, v[43:44] offset:24
.LBB16_20:                              ;   in Loop: Header=BB16_15 Depth=2
	s_wait_alu 0xfffe
	s_and_not1_b32 vcc_lo, exec_lo, s23
	s_wait_alu 0xfffe
	s_cbranch_vccnz .LBB16_22
; %bb.21:                               ;   in Loop: Header=BB16_15 Depth=2
	s_clause 0x1
	global_load_b128 v[35:38], v[4:5], off offset:8
	global_load_b64 v[4:5], v[4:5], off offset:24
	s_wait_loadcnt 0x1
	v_mul_f32_e64 v14, v36, -s3
	v_dual_mul_f32 v15, s7, v36 :: v_dual_mul_f32 v40, s7, v38
	v_mul_f32_e64 v39, v38, -s3
	s_wait_loadcnt 0x0
	v_mul_f32_e64 v41, v5, -s3
	s_delay_alu instid0(VALU_DEP_3) | instskip(NEXT) | instid1(VALU_DEP_3)
	v_dual_mul_f32 v42, s7, v5 :: v_dual_fmac_f32 v15, s3, v35
	v_dual_fmac_f32 v14, s7, v35 :: v_dual_fmac_f32 v39, s7, v37
	s_delay_alu instid0(VALU_DEP_3) | instskip(NEXT) | instid1(VALU_DEP_3)
	v_dual_fmac_f32 v40, s3, v37 :: v_dual_fmac_f32 v41, s7, v4
	v_fmac_f32_e32 v42, s3, v4
	ds_store_2addr_b64 v6, v[14:15], v[39:40] offset0:1 offset1:2
	ds_store_b64 v6, v[41:42] offset:24
.LBB16_22:                              ;   in Loop: Header=BB16_15 Depth=2
	s_wait_alu 0xfffe
	s_or_b32 exec_lo, exec_lo, s22
	s_mov_b32 s22, -1
	s_and_saveexec_b32 s23, s0
	s_cbranch_execz .LBB16_14
; %bb.23:                               ;   in Loop: Header=BB16_15 Depth=2
	v_add_nc_u32_e32 v8, 32, v8
	v_add_nc_u32_e32 v12, 0x80, v12
	s_delay_alu instid0(VALU_DEP_2)
	v_cmp_ge_i32_e32 vcc_lo, v8, v18
	s_or_not1_b32 s22, vcc_lo, exec_lo
	s_branch .LBB16_14
.LBB16_24:                              ;   in Loop: Header=BB16_12 Depth=1
	s_or_b32 exec_lo, exec_lo, s21
.LBB16_25:                              ;   in Loop: Header=BB16_12 Depth=1
	s_wait_alu 0xfffe
	s_or_b32 exec_lo, exec_lo, s6
	s_delay_alu instid0(SALU_CYCLE_1)
	s_mov_b32 s6, exec_lo
	s_wait_loadcnt_dscnt 0x0
	global_inv scope:SCOPE_SE
	v_cmpx_lt_i32_e64 v10, v19
	s_cbranch_execz .LBB16_38
; %bb.26:                               ;   in Loop: Header=BB16_12 Depth=1
	v_lshlrev_b32_e32 v12, 2, v10
	s_mov_b32 s21, 0
	s_branch .LBB16_28
.LBB16_27:                              ;   in Loop: Header=BB16_28 Depth=2
	s_wait_alu 0xfffe
	s_or_b32 exec_lo, exec_lo, s23
	s_delay_alu instid0(SALU_CYCLE_1)
	s_and_b32 s0, exec_lo, s22
	s_wait_alu 0xfffe
	s_or_b32 s21, s0, s21
	s_wait_alu 0xfffe
	s_and_not1_b32 exec_lo, exec_lo, s21
	s_cbranch_execz .LBB16_37
.LBB16_28:                              ;   Parent Loop BB16_12 Depth=1
                                        ; =>  This Inner Loop Header: Depth=2
	v_ashrrev_i32_e32 v11, 31, v10
	s_mov_b32 s22, exec_lo
	s_delay_alu instid0(VALU_DEP_1) | instskip(NEXT) | instid1(VALU_DEP_1)
	v_lshlrev_b64_e32 v[4:5], 2, v[10:11]
	v_add_co_u32 v4, vcc_lo, s14, v4
	s_wait_alu 0xfffd
	s_delay_alu instid0(VALU_DEP_2) | instskip(SKIP_3) | instid1(VALU_DEP_1)
	v_add_co_ci_u32_e64 v5, null, s15, v5, vcc_lo
	global_load_b32 v4, v[4:5], off
	s_wait_loadcnt 0x0
	v_subrev_nc_u32_e32 v4, s5, v4
	v_sub_nc_u32_e32 v11, v4, v24
	s_delay_alu instid0(VALU_DEP_1)
	v_cmp_gt_u32_e64 s0, 32, v11
	v_cmpx_lt_u32_e32 31, v11
	s_wait_alu 0xfffe
	s_xor_b32 s22, exec_lo, s22
; %bb.29:                               ;   in Loop: Header=BB16_28 Depth=2
	v_min_i32_e32 v34, v4, v34
                                        ; implicit-def: $vgpr11
; %bb.30:                               ;   in Loop: Header=BB16_28 Depth=2
	s_wait_alu 0xfffe
	s_and_not1_saveexec_b32 s22, s22
	s_cbranch_execz .LBB16_35
; %bb.31:                               ;   in Loop: Header=BB16_28 Depth=2
	v_lshlrev_b64_e32 v[4:5], 3, v[12:13]
	s_mov_b32 s23, -1
	s_wait_kmcnt 0x0
	s_delay_alu instid0(VALU_DEP_1) | instskip(SKIP_1) | instid1(VALU_DEP_2)
	v_add_co_u32 v14, vcc_lo, s12, v4
	s_wait_alu 0xfffd
	v_add_co_ci_u32_e64 v15, null, s13, v5, vcc_lo
	s_and_not1_b32 vcc_lo, exec_lo, s1
	global_load_b64 v[35:36], v[14:15], off
	v_lshlrev_b32_e32 v4, 5, v11
	v_add_nc_u32_e32 v11, v17, v11
	s_delay_alu instid0(VALU_DEP_2) | instskip(SKIP_4) | instid1(VALU_DEP_2)
	v_add_nc_u32_e32 v9, v16, v4
	ds_load_b128 v[4:7], v9
	s_wait_loadcnt_dscnt 0x0
	v_fma_f32 v4, s2, v35, v4
	v_fma_f32 v5, s27, v35, v5
	v_fma_f32 v4, -s27, v36, v4
	s_delay_alu instid0(VALU_DEP_2)
	v_fmac_f32_e32 v5, s2, v36
	ds_store_b8 v11, v31
	ds_store_b64 v9, v[4:5]
	s_wait_alu 0xfffe
	s_cbranch_vccnz .LBB16_33
; %bb.32:                               ;   in Loop: Header=BB16_28 Depth=2
	s_clause 0x1
	global_load_b128 v[35:38], v[14:15], off offset:8
	global_load_b64 v[4:5], v[14:15], off offset:24
	ds_load_b128 v[39:42], v9 offset:16
	s_mov_b32 s23, 0
	s_wait_loadcnt 0x1
	v_fma_f32 v11, s2, v37, v6
	v_fma_f32 v44, s27, v37, v7
	s_wait_dscnt 0x0
	v_fma_f32 v37, s2, v35, v39
	v_fma_f32 v39, s27, v35, v40
	s_wait_loadcnt 0x0
	v_fma_f32 v35, s2, v4, v41
	v_fmac_f32_e32 v42, s27, v4
	v_fma_f32 v43, -s27, v38, v11
	v_dual_fmac_f32 v44, s2, v38 :: v_dual_fmac_f32 v39, s2, v36
	v_fma_f32 v38, -s27, v36, v37
	v_fma_f32 v41, -s27, v5, v35
	v_fmac_f32_e32 v42, s2, v5
	ds_store_2addr_b64 v9, v[43:44], v[38:39] offset0:1 offset1:2
	ds_store_b64 v9, v[41:42] offset:24
.LBB16_33:                              ;   in Loop: Header=BB16_28 Depth=2
	s_wait_alu 0xfffe
	s_and_not1_b32 vcc_lo, exec_lo, s23
	s_wait_alu 0xfffe
	s_cbranch_vccnz .LBB16_35
; %bb.34:                               ;   in Loop: Header=BB16_28 Depth=2
	s_clause 0x1
	global_load_b128 v[35:38], v[14:15], off offset:8
	global_load_b64 v[4:5], v[14:15], off offset:24
	ds_load_b128 v[39:42], v9 offset:16
	s_wait_loadcnt 0x1
	v_fma_f32 v6, s2, v35, v6
	s_wait_loadcnt_dscnt 0x0
	v_dual_fmac_f32 v7, s27, v35 :: v_dual_fmac_f32 v42, s27, v4
	v_fma_f32 v11, s2, v37, v39
	v_fma_f32 v15, s27, v37, v40
	;; [unrolled: 1-line block ×3, first 2 shown]
	s_delay_alu instid0(VALU_DEP_4)
	v_dual_fmac_f32 v7, s2, v36 :: v_dual_fmac_f32 v42, s2, v5
	v_fma_f32 v6, -s27, v36, v6
	v_fma_f32 v14, -s27, v38, v11
	v_fmac_f32_e32 v15, s2, v38
	v_fma_f32 v41, -s27, v5, v35
	ds_store_2addr_b64 v9, v[6:7], v[14:15] offset0:1 offset1:2
	ds_store_b64 v9, v[41:42] offset:24
.LBB16_35:                              ;   in Loop: Header=BB16_28 Depth=2
	s_wait_alu 0xfffe
	s_or_b32 exec_lo, exec_lo, s22
	s_mov_b32 s22, -1
	s_and_saveexec_b32 s23, s0
	s_cbranch_execz .LBB16_27
; %bb.36:                               ;   in Loop: Header=BB16_28 Depth=2
	v_add_nc_u32_e32 v10, 32, v10
	v_add_nc_u32_e32 v12, 0x80, v12
	s_delay_alu instid0(VALU_DEP_2)
	v_cmp_ge_i32_e32 vcc_lo, v10, v19
	s_or_not1_b32 s22, vcc_lo, exec_lo
	s_branch .LBB16_27
.LBB16_37:                              ;   in Loop: Header=BB16_12 Depth=1
	s_or_b32 exec_lo, exec_lo, s21
.LBB16_38:                              ;   in Loop: Header=BB16_12 Depth=1
	s_wait_alu 0xfffe
	s_or_b32 exec_lo, exec_lo, s6
	s_wait_loadcnt_dscnt 0x0
	global_inv scope:SCOPE_SE
	ds_load_u8 v4, v30
	s_mov_b32 s6, exec_lo
	s_wait_dscnt 0x0
	v_and_b32_e32 v5, 1, v4
	v_cmp_ne_u16_e32 vcc_lo, 0, v4
	s_delay_alu instid0(VALU_DEP_2)
	v_cmpx_eq_u32_e32 1, v5
	s_cbranch_execz .LBB16_11
; %bb.39:                               ;   in Loop: Header=BB16_12 Depth=1
	ds_load_2addr_b64 v[4:7], v21 offset1:3
	s_wait_dscnt 0x0
	s_wait_alu 0xfffd
	v_dual_mov_b32 v36, v5 :: v_dual_and_b32 v9, vcc_lo, v22
	s_delay_alu instid0(VALU_DEP_1) | instskip(NEXT) | instid1(VALU_DEP_1)
	v_bcnt_u32_b32 v9, v9, 0
	v_add3_u32 v14, v20, v9, -1
	v_mov_b32_e32 v35, v4
	ds_load_b64 v[37:38], v32
	ds_load_b64 v[4:5], v33
	v_add_nc_u32_e32 v9, v23, v24
	v_ashrrev_i32_e32 v15, 31, v14
	v_lshlrev_b32_e32 v12, 2, v14
	s_delay_alu instid0(VALU_DEP_2) | instskip(NEXT) | instid1(VALU_DEP_2)
	v_lshlrev_b64_e32 v[14:15], 2, v[14:15]
	v_lshlrev_b64_e32 v[11:12], 3, v[12:13]
	s_wait_kmcnt 0x0
	s_delay_alu instid0(VALU_DEP_2) | instskip(SKIP_1) | instid1(VALU_DEP_3)
	v_add_co_u32 v14, s0, s16, v14
	s_wait_alu 0xf1ff
	v_add_co_ci_u32_e64 v15, null, s17, v15, s0
	s_delay_alu instid0(VALU_DEP_3)
	v_add_co_u32 v11, s0, s18, v11
	s_wait_alu 0xf1ff
	v_add_co_ci_u32_e64 v12, null, s19, v12, s0
	global_store_b32 v[14:15], v9, off
	s_wait_dscnt 0x1
	global_store_b128 v[11:12], v[35:38], off
	s_wait_dscnt 0x0
	global_store_b128 v[11:12], v[4:7], off offset:16
	s_branch .LBB16_11
.LBB16_40:
	s_endpgm
.LBB16_41:
	s_load_b32 s7, s[2:3], 0x0
	v_cndmask_b32_e64 v1, 0, 1, s8
	s_and_not1_b32 vcc_lo, exec_lo, s8
	s_cbranch_vccnz .LBB16_2
.LBB16_42:
	s_load_b32 s3, s[2:3], 0x4
	s_delay_alu instid0(VALU_DEP_1)
	v_cmp_ne_u32_e32 vcc_lo, 1, v1
	s_mov_b32 s2, s26
	s_cbranch_vccnz .LBB16_3
.LBB16_43:
	s_load_b32 s2, s[26:27], 0x0
	v_cmp_ne_u32_e32 vcc_lo, 1, v1
	s_cbranch_vccz .LBB16_4
	s_branch .LBB16_5
	.section	.rodata,"a",@progbits
	.p2align	6, 0x0
	.amdhsa_kernel _ZN9rocsparseL39bsrgeam_wf_per_row_multipass_2_3_kernelILj256ELj2ELj32E21rocsparse_complex_numIfEEEv20rocsparse_direction_iiiNS_24const_host_device_scalarIT2_EEPKiS8_PKS5_S6_S8_S8_SA_S8_PiPS5_21rocsparse_index_base_SD_SD_b
		.amdhsa_group_segment_fixed_size 8448
		.amdhsa_private_segment_fixed_size 0
		.amdhsa_kernarg_size 120
		.amdhsa_user_sgpr_count 2
		.amdhsa_user_sgpr_dispatch_ptr 0
		.amdhsa_user_sgpr_queue_ptr 0
		.amdhsa_user_sgpr_kernarg_segment_ptr 1
		.amdhsa_user_sgpr_dispatch_id 0
		.amdhsa_user_sgpr_private_segment_size 0
		.amdhsa_wavefront_size32 1
		.amdhsa_uses_dynamic_stack 0
		.amdhsa_enable_private_segment 0
		.amdhsa_system_sgpr_workgroup_id_x 1
		.amdhsa_system_sgpr_workgroup_id_y 0
		.amdhsa_system_sgpr_workgroup_id_z 0
		.amdhsa_system_sgpr_workgroup_info 0
		.amdhsa_system_vgpr_workitem_id 0
		.amdhsa_next_free_vgpr 45
		.amdhsa_next_free_sgpr 28
		.amdhsa_reserve_vcc 1
		.amdhsa_float_round_mode_32 0
		.amdhsa_float_round_mode_16_64 0
		.amdhsa_float_denorm_mode_32 3
		.amdhsa_float_denorm_mode_16_64 3
		.amdhsa_fp16_overflow 0
		.amdhsa_workgroup_processor_mode 1
		.amdhsa_memory_ordered 1
		.amdhsa_forward_progress 1
		.amdhsa_inst_pref_size 20
		.amdhsa_round_robin_scheduling 0
		.amdhsa_exception_fp_ieee_invalid_op 0
		.amdhsa_exception_fp_denorm_src 0
		.amdhsa_exception_fp_ieee_div_zero 0
		.amdhsa_exception_fp_ieee_overflow 0
		.amdhsa_exception_fp_ieee_underflow 0
		.amdhsa_exception_fp_ieee_inexact 0
		.amdhsa_exception_int_div_zero 0
	.end_amdhsa_kernel
	.section	.text._ZN9rocsparseL39bsrgeam_wf_per_row_multipass_2_3_kernelILj256ELj2ELj32E21rocsparse_complex_numIfEEEv20rocsparse_direction_iiiNS_24const_host_device_scalarIT2_EEPKiS8_PKS5_S6_S8_S8_SA_S8_PiPS5_21rocsparse_index_base_SD_SD_b,"axG",@progbits,_ZN9rocsparseL39bsrgeam_wf_per_row_multipass_2_3_kernelILj256ELj2ELj32E21rocsparse_complex_numIfEEEv20rocsparse_direction_iiiNS_24const_host_device_scalarIT2_EEPKiS8_PKS5_S6_S8_S8_SA_S8_PiPS5_21rocsparse_index_base_SD_SD_b,comdat
.Lfunc_end16:
	.size	_ZN9rocsparseL39bsrgeam_wf_per_row_multipass_2_3_kernelILj256ELj2ELj32E21rocsparse_complex_numIfEEEv20rocsparse_direction_iiiNS_24const_host_device_scalarIT2_EEPKiS8_PKS5_S6_S8_S8_SA_S8_PiPS5_21rocsparse_index_base_SD_SD_b, .Lfunc_end16-_ZN9rocsparseL39bsrgeam_wf_per_row_multipass_2_3_kernelILj256ELj2ELj32E21rocsparse_complex_numIfEEEv20rocsparse_direction_iiiNS_24const_host_device_scalarIT2_EEPKiS8_PKS5_S6_S8_S8_SA_S8_PiPS5_21rocsparse_index_base_SD_SD_b
                                        ; -- End function
	.set _ZN9rocsparseL39bsrgeam_wf_per_row_multipass_2_3_kernelILj256ELj2ELj32E21rocsparse_complex_numIfEEEv20rocsparse_direction_iiiNS_24const_host_device_scalarIT2_EEPKiS8_PKS5_S6_S8_S8_SA_S8_PiPS5_21rocsparse_index_base_SD_SD_b.num_vgpr, 45
	.set _ZN9rocsparseL39bsrgeam_wf_per_row_multipass_2_3_kernelILj256ELj2ELj32E21rocsparse_complex_numIfEEEv20rocsparse_direction_iiiNS_24const_host_device_scalarIT2_EEPKiS8_PKS5_S6_S8_S8_SA_S8_PiPS5_21rocsparse_index_base_SD_SD_b.num_agpr, 0
	.set _ZN9rocsparseL39bsrgeam_wf_per_row_multipass_2_3_kernelILj256ELj2ELj32E21rocsparse_complex_numIfEEEv20rocsparse_direction_iiiNS_24const_host_device_scalarIT2_EEPKiS8_PKS5_S6_S8_S8_SA_S8_PiPS5_21rocsparse_index_base_SD_SD_b.numbered_sgpr, 28
	.set _ZN9rocsparseL39bsrgeam_wf_per_row_multipass_2_3_kernelILj256ELj2ELj32E21rocsparse_complex_numIfEEEv20rocsparse_direction_iiiNS_24const_host_device_scalarIT2_EEPKiS8_PKS5_S6_S8_S8_SA_S8_PiPS5_21rocsparse_index_base_SD_SD_b.num_named_barrier, 0
	.set _ZN9rocsparseL39bsrgeam_wf_per_row_multipass_2_3_kernelILj256ELj2ELj32E21rocsparse_complex_numIfEEEv20rocsparse_direction_iiiNS_24const_host_device_scalarIT2_EEPKiS8_PKS5_S6_S8_S8_SA_S8_PiPS5_21rocsparse_index_base_SD_SD_b.private_seg_size, 0
	.set _ZN9rocsparseL39bsrgeam_wf_per_row_multipass_2_3_kernelILj256ELj2ELj32E21rocsparse_complex_numIfEEEv20rocsparse_direction_iiiNS_24const_host_device_scalarIT2_EEPKiS8_PKS5_S6_S8_S8_SA_S8_PiPS5_21rocsparse_index_base_SD_SD_b.uses_vcc, 1
	.set _ZN9rocsparseL39bsrgeam_wf_per_row_multipass_2_3_kernelILj256ELj2ELj32E21rocsparse_complex_numIfEEEv20rocsparse_direction_iiiNS_24const_host_device_scalarIT2_EEPKiS8_PKS5_S6_S8_S8_SA_S8_PiPS5_21rocsparse_index_base_SD_SD_b.uses_flat_scratch, 0
	.set _ZN9rocsparseL39bsrgeam_wf_per_row_multipass_2_3_kernelILj256ELj2ELj32E21rocsparse_complex_numIfEEEv20rocsparse_direction_iiiNS_24const_host_device_scalarIT2_EEPKiS8_PKS5_S6_S8_S8_SA_S8_PiPS5_21rocsparse_index_base_SD_SD_b.has_dyn_sized_stack, 0
	.set _ZN9rocsparseL39bsrgeam_wf_per_row_multipass_2_3_kernelILj256ELj2ELj32E21rocsparse_complex_numIfEEEv20rocsparse_direction_iiiNS_24const_host_device_scalarIT2_EEPKiS8_PKS5_S6_S8_S8_SA_S8_PiPS5_21rocsparse_index_base_SD_SD_b.has_recursion, 0
	.set _ZN9rocsparseL39bsrgeam_wf_per_row_multipass_2_3_kernelILj256ELj2ELj32E21rocsparse_complex_numIfEEEv20rocsparse_direction_iiiNS_24const_host_device_scalarIT2_EEPKiS8_PKS5_S6_S8_S8_SA_S8_PiPS5_21rocsparse_index_base_SD_SD_b.has_indirect_call, 0
	.section	.AMDGPU.csdata,"",@progbits
; Kernel info:
; codeLenInByte = 2500
; TotalNumSgprs: 30
; NumVgprs: 45
; ScratchSize: 0
; MemoryBound: 0
; FloatMode: 240
; IeeeMode: 1
; LDSByteSize: 8448 bytes/workgroup (compile time only)
; SGPRBlocks: 0
; VGPRBlocks: 5
; NumSGPRsForWavesPerEU: 30
; NumVGPRsForWavesPerEU: 45
; Occupancy: 16
; WaveLimiterHint : 1
; COMPUTE_PGM_RSRC2:SCRATCH_EN: 0
; COMPUTE_PGM_RSRC2:USER_SGPR: 2
; COMPUTE_PGM_RSRC2:TRAP_HANDLER: 0
; COMPUTE_PGM_RSRC2:TGID_X_EN: 1
; COMPUTE_PGM_RSRC2:TGID_Y_EN: 0
; COMPUTE_PGM_RSRC2:TGID_Z_EN: 0
; COMPUTE_PGM_RSRC2:TIDIG_COMP_CNT: 0
	.section	.text._ZN9rocsparseL39bsrgeam_wf_per_row_multipass_2_3_kernelILj256ELj2ELj64E21rocsparse_complex_numIfEEEv20rocsparse_direction_iiiNS_24const_host_device_scalarIT2_EEPKiS8_PKS5_S6_S8_S8_SA_S8_PiPS5_21rocsparse_index_base_SD_SD_b,"axG",@progbits,_ZN9rocsparseL39bsrgeam_wf_per_row_multipass_2_3_kernelILj256ELj2ELj64E21rocsparse_complex_numIfEEEv20rocsparse_direction_iiiNS_24const_host_device_scalarIT2_EEPKiS8_PKS5_S6_S8_S8_SA_S8_PiPS5_21rocsparse_index_base_SD_SD_b,comdat
	.globl	_ZN9rocsparseL39bsrgeam_wf_per_row_multipass_2_3_kernelILj256ELj2ELj64E21rocsparse_complex_numIfEEEv20rocsparse_direction_iiiNS_24const_host_device_scalarIT2_EEPKiS8_PKS5_S6_S8_S8_SA_S8_PiPS5_21rocsparse_index_base_SD_SD_b ; -- Begin function _ZN9rocsparseL39bsrgeam_wf_per_row_multipass_2_3_kernelILj256ELj2ELj64E21rocsparse_complex_numIfEEEv20rocsparse_direction_iiiNS_24const_host_device_scalarIT2_EEPKiS8_PKS5_S6_S8_S8_SA_S8_PiPS5_21rocsparse_index_base_SD_SD_b
	.p2align	8
	.type	_ZN9rocsparseL39bsrgeam_wf_per_row_multipass_2_3_kernelILj256ELj2ELj64E21rocsparse_complex_numIfEEEv20rocsparse_direction_iiiNS_24const_host_device_scalarIT2_EEPKiS8_PKS5_S6_S8_S8_SA_S8_PiPS5_21rocsparse_index_base_SD_SD_b,@function
_ZN9rocsparseL39bsrgeam_wf_per_row_multipass_2_3_kernelILj256ELj2ELj64E21rocsparse_complex_numIfEEEv20rocsparse_direction_iiiNS_24const_host_device_scalarIT2_EEPKiS8_PKS5_S6_S8_S8_SA_S8_PiPS5_21rocsparse_index_base_SD_SD_b: ; @_ZN9rocsparseL39bsrgeam_wf_per_row_multipass_2_3_kernelILj256ELj2ELj64E21rocsparse_complex_numIfEEEv20rocsparse_direction_iiiNS_24const_host_device_scalarIT2_EEPKiS8_PKS5_S6_S8_S8_SA_S8_PiPS5_21rocsparse_index_base_SD_SD_b
; %bb.0:
	s_clause 0x2
	s_load_b128 s[4:7], s[0:1], 0x68
	s_load_b64 s[2:3], s[0:1], 0x10
	s_load_b64 s[26:27], s[0:1], 0x30
	s_wait_kmcnt 0x0
	s_bitcmp1_b32 s7, 0
	s_cselect_b32 s7, -1, 0
	s_delay_alu instid0(SALU_CYCLE_1)
	s_xor_b32 s8, s7, -1
	s_and_b32 vcc_lo, exec_lo, s7
	s_mov_b32 s7, s2
	s_cbranch_vccz .LBB17_41
; %bb.1:
	v_cndmask_b32_e64 v1, 0, 1, s8
	s_and_not1_b32 vcc_lo, exec_lo, s8
	s_cbranch_vccz .LBB17_42
.LBB17_2:
	s_delay_alu instid0(VALU_DEP_1)
	v_cmp_ne_u32_e32 vcc_lo, 1, v1
	s_mov_b32 s2, s26
	s_cbranch_vccz .LBB17_43
.LBB17_3:
	v_cmp_ne_u32_e32 vcc_lo, 1, v1
	s_cbranch_vccnz .LBB17_5
.LBB17_4:
	s_load_b32 s27, s[26:27], 0x4
.LBB17_5:
	s_load_b96 s[24:26], s[0:1], 0x0
	v_lshrrev_b32_e32 v7, 6, v0
	s_lshl_b32 s8, ttmp9, 2
	s_wait_alu 0xfffe
	s_delay_alu instid0(VALU_DEP_1) | instskip(SKIP_2) | instid1(VALU_DEP_1)
	v_and_or_b32 v1, 0x3fffffc, s8, v7
	s_mov_b32 s8, exec_lo
	s_wait_kmcnt 0x0
	v_cmpx_gt_i32_e64 s25, v1
	s_cbranch_execz .LBB17_40
; %bb.6:
	s_clause 0x2
	s_load_b128 s[8:11], s[0:1], 0x18
	s_load_b128 s[12:15], s[0:1], 0x38
	s_load_b64 s[16:17], s[0:1], 0x50
	v_lshlrev_b32_e32 v1, 2, v1
	s_wait_kmcnt 0x0
	s_clause 0x2
	global_load_b64 v[5:6], v1, s[8:9]
	global_load_b64 v[3:4], v1, s[12:13]
	global_load_b32 v8, v1, s[16:17]
	s_wait_loadcnt 0x2
	v_subrev_nc_u32_e32 v1, s4, v5
	v_cmp_lt_i32_e32 vcc_lo, v5, v6
	v_mov_b32_e32 v5, s26
	s_and_saveexec_b32 s8, vcc_lo
	s_cbranch_execz .LBB17_8
; %bb.7:
	v_ashrrev_i32_e32 v2, 31, v1
	s_delay_alu instid0(VALU_DEP_1) | instskip(NEXT) | instid1(VALU_DEP_1)
	v_lshlrev_b64_e32 v[9:10], 2, v[1:2]
	v_add_co_u32 v9, vcc_lo, s10, v9
	s_delay_alu instid0(VALU_DEP_1)
	v_add_co_ci_u32_e64 v10, null, s11, v10, vcc_lo
	global_load_b32 v2, v[9:10], off
	s_wait_loadcnt 0x0
	v_subrev_nc_u32_e32 v5, s4, v2
.LBB17_8:
	s_wait_alu 0xfffe
	s_or_b32 exec_lo, exec_lo, s8
	s_clause 0x2
	s_load_b128 s[16:19], s[0:1], 0x58
	s_load_b64 s[8:9], s[0:1], 0x28
	s_load_b64 s[12:13], s[0:1], 0x48
	s_wait_loadcnt 0x1
	v_subrev_nc_u32_e32 v2, s5, v3
	v_cmp_lt_i32_e32 vcc_lo, v3, v4
	v_mov_b32_e32 v3, s26
	s_and_saveexec_b32 s0, vcc_lo
	s_cbranch_execz .LBB17_10
; %bb.9:
	v_ashrrev_i32_e32 v3, 31, v2
	s_delay_alu instid0(VALU_DEP_1) | instskip(NEXT) | instid1(VALU_DEP_1)
	v_lshlrev_b64_e32 v[9:10], 2, v[2:3]
	v_add_co_u32 v9, vcc_lo, s14, v9
	s_wait_alu 0xfffd
	s_delay_alu instid0(VALU_DEP_2)
	v_add_co_ci_u32_e64 v10, null, s15, v10, vcc_lo
	global_load_b32 v3, v[9:10], off
	s_wait_loadcnt 0x0
	v_subrev_nc_u32_e32 v3, s5, v3
.LBB17_10:
	s_or_b32 exec_lo, exec_lo, s0
	s_movk_i32 s0, 0xc0
	v_subrev_nc_u32_e32 v20, s5, v4
	v_and_or_b32 v18, v0, s0, 0x2000
	v_mbcnt_lo_u32_b32 v4, -1, 0
	v_and_b32_e32 v0, 63, v0
	s_wait_loadcnt 0x0
	v_subrev_nc_u32_e32 v21, s6, v8
	v_min_i32_e32 v25, v3, v5
	s_mov_b32 s20, 0
	v_xor_b32_e32 v3, 16, v4
	v_add_nc_u32_e32 v8, v1, v0
	v_or_b32_e32 v1, 32, v4
	s_mov_b32 s21, s20
	s_mov_b32 s22, s20
	;; [unrolled: 1-line block ×3, first 2 shown]
	v_xor_b32_e32 v5, 2, v4
	v_cmp_gt_i32_e32 vcc_lo, 32, v1
	v_subrev_nc_u32_e32 v19, s4, v6
	v_xor_b32_e32 v6, 1, v4
	s_cmp_lg_u32 s24, 0
	s_wait_alu 0xfffd
	v_dual_mov_b32 v14, 0 :: v_dual_cndmask_b32 v1, v4, v1
	v_add_nc_u32_e32 v10, v2, v0
	v_xor_b32_e32 v2, 63, v0
	v_cmp_gt_i32_e32 vcc_lo, 32, v3
	v_add_nc_u32_e32 v23, s6, v0
	v_lshlrev_b32_e32 v24, 2, v1
	v_xor_b32_e32 v1, 8, v4
	v_lshrrev_b64 v[12:13], v2, -1
	s_wait_alu 0xfffd
	v_cndmask_b32_e32 v2, v4, v3, vcc_lo
	v_xor_b32_e32 v3, 4, v4
	s_cselect_b32 s1, -1, 0
	v_cmp_gt_i32_e32 vcc_lo, 32, v1
	s_cmp_eq_u32 s24, 0
	v_add_nc_u32_e32 v31, v18, v0
	s_cselect_b32 s0, 8, 16
	s_cselect_b32 s6, 16, 8
	s_wait_alu 0xfffd
	v_cndmask_b32_e32 v1, v4, v1, vcc_lo
	v_cmp_gt_i32_e32 vcc_lo, 32, v3
	v_lshlrev_b32_e32 v26, 2, v2
	s_delay_alu instid0(VALU_DEP_3) | instskip(SKIP_4) | instid1(VALU_DEP_2)
	v_lshlrev_b32_e32 v27, 2, v1
	s_wait_alu 0xfffd
	v_cndmask_b32_e32 v3, v4, v3, vcc_lo
	v_cmp_gt_i32_e32 vcc_lo, 32, v5
	s_wait_alu 0xfffd
	v_dual_cndmask_b32 v5, v4, v5 :: v_dual_lshlrev_b32 v28, 2, v3
	v_cmp_gt_i32_e32 vcc_lo, 32, v6
	v_lshlrev_b32_e32 v17, 11, v7
	s_wait_alu 0xfffd
	s_delay_alu instid0(VALU_DEP_3) | instskip(NEXT) | instid1(VALU_DEP_2)
	v_dual_cndmask_b32 v4, v4, v6 :: v_dual_lshlrev_b32 v29, 2, v5
	v_lshl_or_b32 v22, v0, 5, v17
	v_dual_mov_b32 v0, s20 :: v_dual_mov_b32 v1, s21
	v_mov_b32_e32 v2, s22
	s_delay_alu instid0(VALU_DEP_4)
	v_dual_mov_b32 v3, s23 :: v_dual_lshlrev_b32 v30, 2, v4
	s_wait_alu 0xfffe
	v_dual_mov_b32 v32, 1 :: v_dual_add_nc_u32 v33, s0, v22
	v_add_nc_u32_e32 v34, s6, v22
	s_branch .LBB17_12
.LBB17_11:                              ;   in Loop: Header=BB17_12 Depth=1
	s_wait_alu 0xfffe
	s_or_b32 exec_lo, exec_lo, s6
	ds_bpermute_b32 v4, v24, v35
	s_bcnt1_i32_b32 s6, vcc_lo
	s_wait_alu 0xfffe
	v_add_nc_u32_e32 v21, s6, v21
	s_wait_dscnt 0x0
	v_min_i32_e32 v4, v4, v35
	ds_bpermute_b32 v5, v26, v4
	s_wait_dscnt 0x0
	v_min_i32_e32 v4, v5, v4
	ds_bpermute_b32 v5, v27, v4
	;; [unrolled: 3-line block ×5, first 2 shown]
	s_wait_dscnt 0x0
	v_min_i32_e32 v25, v5, v4
	s_delay_alu instid0(VALU_DEP_1)
	v_cmp_le_i32_e64 s0, s26, v25
	s_or_b32 s20, s0, s20
	s_wait_alu 0xfffe
	s_and_not1_b32 exec_lo, exec_lo, s20
	s_cbranch_execz .LBB17_40
.LBB17_12:                              ; =>This Loop Header: Depth=1
                                        ;     Child Loop BB17_15 Depth 2
                                        ;     Child Loop BB17_28 Depth 2
	v_mov_b32_e32 v35, s26
	s_mov_b32 s6, exec_lo
	ds_store_b8 v31, v14
	ds_store_b128 v22, v[0:3]
	ds_store_b128 v22, v[0:3] offset:16
	s_wait_dscnt 0x0
	global_inv scope:SCOPE_SE
	v_cmpx_lt_i32_e64 v8, v19
	s_cbranch_execz .LBB17_25
; %bb.13:                               ;   in Loop: Header=BB17_12 Depth=1
	v_lshlrev_b32_e32 v13, 2, v8
	v_mov_b32_e32 v35, s26
	s_mov_b32 s21, 0
	s_branch .LBB17_15
.LBB17_14:                              ;   in Loop: Header=BB17_15 Depth=2
	s_wait_alu 0xfffe
	s_or_b32 exec_lo, exec_lo, s23
	s_delay_alu instid0(SALU_CYCLE_1)
	s_and_b32 s0, exec_lo, s22
	s_wait_alu 0xfffe
	s_or_b32 s21, s0, s21
	s_wait_alu 0xfffe
	s_and_not1_b32 exec_lo, exec_lo, s21
	s_cbranch_execz .LBB17_24
.LBB17_15:                              ;   Parent Loop BB17_12 Depth=1
                                        ; =>  This Inner Loop Header: Depth=2
	v_ashrrev_i32_e32 v9, 31, v8
	s_mov_b32 s22, exec_lo
	s_delay_alu instid0(VALU_DEP_1) | instskip(NEXT) | instid1(VALU_DEP_1)
	v_lshlrev_b64_e32 v[4:5], 2, v[8:9]
	v_add_co_u32 v4, vcc_lo, s10, v4
	s_wait_alu 0xfffd
	s_delay_alu instid0(VALU_DEP_2) | instskip(SKIP_3) | instid1(VALU_DEP_1)
	v_add_co_ci_u32_e64 v5, null, s11, v5, vcc_lo
	global_load_b32 v4, v[4:5], off
	s_wait_loadcnt 0x0
	v_subrev_nc_u32_e32 v4, s4, v4
	v_sub_nc_u32_e32 v6, v4, v25
	s_delay_alu instid0(VALU_DEP_1)
	v_cmp_gt_u32_e64 s0, 64, v6
	v_cmpx_lt_u32_e32 63, v6
	s_wait_alu 0xfffe
	s_xor_b32 s22, exec_lo, s22
; %bb.16:                               ;   in Loop: Header=BB17_15 Depth=2
	v_min_i32_e32 v35, v4, v35
                                        ; implicit-def: $vgpr6
; %bb.17:                               ;   in Loop: Header=BB17_15 Depth=2
	s_wait_alu 0xfffe
	s_and_not1_saveexec_b32 s22, s22
	s_cbranch_execz .LBB17_22
; %bb.18:                               ;   in Loop: Header=BB17_15 Depth=2
	v_lshlrev_b64_e32 v[4:5], 3, v[13:14]
	v_add_nc_u32_e32 v9, v18, v6
	s_mov_b32 s23, -1
	s_wait_kmcnt 0x0
	s_delay_alu instid0(VALU_DEP_2)
	v_add_co_u32 v4, vcc_lo, s8, v4
	s_wait_alu 0xfffd
	v_add_co_ci_u32_e64 v5, null, s9, v5, vcc_lo
	s_and_not1_b32 vcc_lo, exec_lo, s1
	global_load_b64 v[15:16], v[4:5], off
	s_wait_loadcnt 0x0
	v_mul_f32_e64 v36, v16, -s3
	s_delay_alu instid0(VALU_DEP_1) | instskip(NEXT) | instid1(VALU_DEP_1)
	v_dual_fmac_f32 v36, s7, v15 :: v_dual_lshlrev_b32 v7, 5, v6
	v_dual_mul_f32 v37, s7, v16 :: v_dual_add_nc_u32 v6, v17, v7
	s_delay_alu instid0(VALU_DEP_1)
	v_fmac_f32_e32 v37, s3, v15
	ds_store_b8 v9, v32
	ds_store_b64 v6, v[36:37]
	s_wait_alu 0xfffe
	s_cbranch_vccnz .LBB17_20
; %bb.19:                               ;   in Loop: Header=BB17_15 Depth=2
	s_clause 0x1
	global_load_b128 v[36:39], v[4:5], off offset:8
	global_load_b64 v[15:16], v[4:5], off offset:24
	s_mov_b32 s23, 0
	s_wait_loadcnt 0x1
	v_mul_f32_e64 v40, v39, -s3
	v_mul_f32_e32 v41, s7, v39
	v_mul_f32_e64 v42, v37, -s3
	v_mul_f32_e32 v43, s7, v37
	s_wait_loadcnt 0x0
	v_mul_f32_e64 v44, v16, -s3
	v_dual_mul_f32 v45, s7, v16 :: v_dual_fmac_f32 v40, s7, v38
	v_dual_fmac_f32 v41, s3, v38 :: v_dual_fmac_f32 v42, s7, v36
	s_delay_alu instid0(VALU_DEP_3) | instskip(NEXT) | instid1(VALU_DEP_3)
	v_dual_fmac_f32 v43, s3, v36 :: v_dual_fmac_f32 v44, s7, v15
	v_fmac_f32_e32 v45, s3, v15
	ds_store_2addr_b64 v6, v[40:41], v[42:43] offset0:1 offset1:2
	ds_store_b64 v6, v[44:45] offset:24
.LBB17_20:                              ;   in Loop: Header=BB17_15 Depth=2
	s_wait_alu 0xfffe
	s_and_not1_b32 vcc_lo, exec_lo, s23
	s_wait_alu 0xfffe
	s_cbranch_vccnz .LBB17_22
; %bb.21:                               ;   in Loop: Header=BB17_15 Depth=2
	s_clause 0x1
	global_load_b128 v[36:39], v[4:5], off offset:8
	global_load_b64 v[4:5], v[4:5], off offset:24
	s_wait_loadcnt 0x1
	v_mul_f32_e64 v15, v37, -s3
	v_dual_mul_f32 v16, s7, v37 :: v_dual_mul_f32 v41, s7, v39
	v_mul_f32_e64 v40, v39, -s3
	s_wait_loadcnt 0x0
	v_mul_f32_e64 v42, v5, -s3
	s_delay_alu instid0(VALU_DEP_3) | instskip(NEXT) | instid1(VALU_DEP_3)
	v_dual_mul_f32 v43, s7, v5 :: v_dual_fmac_f32 v16, s3, v36
	v_dual_fmac_f32 v15, s7, v36 :: v_dual_fmac_f32 v40, s7, v38
	s_delay_alu instid0(VALU_DEP_3) | instskip(NEXT) | instid1(VALU_DEP_3)
	v_dual_fmac_f32 v41, s3, v38 :: v_dual_fmac_f32 v42, s7, v4
	v_fmac_f32_e32 v43, s3, v4
	ds_store_2addr_b64 v6, v[15:16], v[40:41] offset0:1 offset1:2
	ds_store_b64 v6, v[42:43] offset:24
.LBB17_22:                              ;   in Loop: Header=BB17_15 Depth=2
	s_wait_alu 0xfffe
	s_or_b32 exec_lo, exec_lo, s22
	s_mov_b32 s22, -1
	s_and_saveexec_b32 s23, s0
	s_cbranch_execz .LBB17_14
; %bb.23:                               ;   in Loop: Header=BB17_15 Depth=2
	v_add_nc_u32_e32 v8, 64, v8
	v_add_nc_u32_e32 v13, 0x100, v13
	s_delay_alu instid0(VALU_DEP_2)
	v_cmp_ge_i32_e32 vcc_lo, v8, v19
	s_or_not1_b32 s22, vcc_lo, exec_lo
	s_branch .LBB17_14
.LBB17_24:                              ;   in Loop: Header=BB17_12 Depth=1
	s_or_b32 exec_lo, exec_lo, s21
.LBB17_25:                              ;   in Loop: Header=BB17_12 Depth=1
	s_wait_alu 0xfffe
	s_or_b32 exec_lo, exec_lo, s6
	s_delay_alu instid0(SALU_CYCLE_1)
	s_mov_b32 s6, exec_lo
	s_wait_loadcnt_dscnt 0x0
	global_inv scope:SCOPE_SE
	v_cmpx_lt_i32_e64 v10, v20
	s_cbranch_execz .LBB17_38
; %bb.26:                               ;   in Loop: Header=BB17_12 Depth=1
	v_lshlrev_b32_e32 v13, 2, v10
	s_mov_b32 s21, 0
	s_branch .LBB17_28
.LBB17_27:                              ;   in Loop: Header=BB17_28 Depth=2
	s_wait_alu 0xfffe
	s_or_b32 exec_lo, exec_lo, s23
	s_delay_alu instid0(SALU_CYCLE_1)
	s_and_b32 s0, exec_lo, s22
	s_wait_alu 0xfffe
	s_or_b32 s21, s0, s21
	s_wait_alu 0xfffe
	s_and_not1_b32 exec_lo, exec_lo, s21
	s_cbranch_execz .LBB17_37
.LBB17_28:                              ;   Parent Loop BB17_12 Depth=1
                                        ; =>  This Inner Loop Header: Depth=2
	v_ashrrev_i32_e32 v11, 31, v10
	s_mov_b32 s22, exec_lo
	s_delay_alu instid0(VALU_DEP_1) | instskip(NEXT) | instid1(VALU_DEP_1)
	v_lshlrev_b64_e32 v[4:5], 2, v[10:11]
	v_add_co_u32 v4, vcc_lo, s14, v4
	s_wait_alu 0xfffd
	s_delay_alu instid0(VALU_DEP_2) | instskip(SKIP_3) | instid1(VALU_DEP_1)
	v_add_co_ci_u32_e64 v5, null, s15, v5, vcc_lo
	global_load_b32 v4, v[4:5], off
	s_wait_loadcnt 0x0
	v_subrev_nc_u32_e32 v4, s5, v4
	v_sub_nc_u32_e32 v11, v4, v25
	s_delay_alu instid0(VALU_DEP_1)
	v_cmp_gt_u32_e64 s0, 64, v11
	v_cmpx_lt_u32_e32 63, v11
	s_wait_alu 0xfffe
	s_xor_b32 s22, exec_lo, s22
; %bb.29:                               ;   in Loop: Header=BB17_28 Depth=2
	v_min_i32_e32 v35, v4, v35
                                        ; implicit-def: $vgpr11
; %bb.30:                               ;   in Loop: Header=BB17_28 Depth=2
	s_wait_alu 0xfffe
	s_and_not1_saveexec_b32 s22, s22
	s_cbranch_execz .LBB17_35
; %bb.31:                               ;   in Loop: Header=BB17_28 Depth=2
	v_lshlrev_b64_e32 v[4:5], 3, v[13:14]
	s_mov_b32 s23, -1
	s_wait_kmcnt 0x0
	s_delay_alu instid0(VALU_DEP_1) | instskip(SKIP_1) | instid1(VALU_DEP_2)
	v_add_co_u32 v15, vcc_lo, s12, v4
	s_wait_alu 0xfffd
	v_add_co_ci_u32_e64 v16, null, s13, v5, vcc_lo
	s_and_not1_b32 vcc_lo, exec_lo, s1
	global_load_b64 v[36:37], v[15:16], off
	v_lshlrev_b32_e32 v4, 5, v11
	v_add_nc_u32_e32 v11, v18, v11
	s_delay_alu instid0(VALU_DEP_2) | instskip(SKIP_4) | instid1(VALU_DEP_2)
	v_add_nc_u32_e32 v9, v17, v4
	ds_load_b128 v[4:7], v9
	s_wait_loadcnt_dscnt 0x0
	v_fma_f32 v4, s2, v36, v4
	v_fma_f32 v5, s27, v36, v5
	v_fma_f32 v4, -s27, v37, v4
	s_delay_alu instid0(VALU_DEP_2)
	v_fmac_f32_e32 v5, s2, v37
	ds_store_b8 v11, v32
	ds_store_b64 v9, v[4:5]
	s_wait_alu 0xfffe
	s_cbranch_vccnz .LBB17_33
; %bb.32:                               ;   in Loop: Header=BB17_28 Depth=2
	s_clause 0x1
	global_load_b128 v[36:39], v[15:16], off offset:8
	global_load_b64 v[4:5], v[15:16], off offset:24
	ds_load_b128 v[40:43], v9 offset:16
	s_mov_b32 s23, 0
	s_wait_loadcnt 0x1
	v_fma_f32 v11, s2, v38, v6
	v_fma_f32 v45, s27, v38, v7
	s_wait_dscnt 0x0
	v_fma_f32 v38, s2, v36, v40
	v_fma_f32 v40, s27, v36, v41
	s_wait_loadcnt 0x0
	v_fma_f32 v36, s2, v4, v42
	v_fmac_f32_e32 v43, s27, v4
	v_fma_f32 v44, -s27, v39, v11
	v_fmac_f32_e32 v45, s2, v39
	v_fma_f32 v39, -s27, v37, v38
	;; [unrolled: 2-line block ×3, first 2 shown]
	v_fmac_f32_e32 v43, s2, v5
	ds_store_2addr_b64 v9, v[44:45], v[39:40] offset0:1 offset1:2
	ds_store_b64 v9, v[42:43] offset:24
.LBB17_33:                              ;   in Loop: Header=BB17_28 Depth=2
	s_wait_alu 0xfffe
	s_and_not1_b32 vcc_lo, exec_lo, s23
	s_wait_alu 0xfffe
	s_cbranch_vccnz .LBB17_35
; %bb.34:                               ;   in Loop: Header=BB17_28 Depth=2
	s_clause 0x1
	global_load_b128 v[36:39], v[15:16], off offset:8
	global_load_b64 v[4:5], v[15:16], off offset:24
	ds_load_b128 v[40:43], v9 offset:16
	s_wait_loadcnt 0x1
	v_fma_f32 v6, s2, v36, v6
	s_wait_dscnt 0x0
	v_fma_f32 v11, s2, v38, v40
	v_fma_f32 v16, s27, v38, v41
	v_fmac_f32_e32 v7, s27, v36
	s_wait_loadcnt 0x0
	v_fma_f32 v36, s2, v4, v42
	v_fmac_f32_e32 v43, s27, v4
	v_fma_f32 v6, -s27, v37, v6
	v_fma_f32 v15, -s27, v39, v11
	v_dual_fmac_f32 v16, s2, v39 :: v_dual_fmac_f32 v7, s2, v37
	v_fma_f32 v42, -s27, v5, v36
	v_fmac_f32_e32 v43, s2, v5
	ds_store_2addr_b64 v9, v[6:7], v[15:16] offset0:1 offset1:2
	ds_store_b64 v9, v[42:43] offset:24
.LBB17_35:                              ;   in Loop: Header=BB17_28 Depth=2
	s_wait_alu 0xfffe
	s_or_b32 exec_lo, exec_lo, s22
	s_mov_b32 s22, -1
	s_and_saveexec_b32 s23, s0
	s_cbranch_execz .LBB17_27
; %bb.36:                               ;   in Loop: Header=BB17_28 Depth=2
	v_add_nc_u32_e32 v10, 64, v10
	v_add_nc_u32_e32 v13, 0x100, v13
	s_delay_alu instid0(VALU_DEP_2)
	v_cmp_ge_i32_e32 vcc_lo, v10, v20
	s_or_not1_b32 s22, vcc_lo, exec_lo
	s_branch .LBB17_27
.LBB17_37:                              ;   in Loop: Header=BB17_12 Depth=1
	s_or_b32 exec_lo, exec_lo, s21
.LBB17_38:                              ;   in Loop: Header=BB17_12 Depth=1
	s_wait_alu 0xfffe
	s_or_b32 exec_lo, exec_lo, s6
	s_wait_loadcnt_dscnt 0x0
	global_inv scope:SCOPE_SE
	ds_load_u8 v4, v31
	s_mov_b32 s6, exec_lo
	s_wait_dscnt 0x0
	v_and_b32_e32 v5, 1, v4
	v_cmp_ne_u16_e32 vcc_lo, 0, v4
	s_delay_alu instid0(VALU_DEP_2)
	v_cmpx_eq_u32_e32 1, v5
	s_cbranch_execz .LBB17_11
; %bb.39:                               ;   in Loop: Header=BB17_12 Depth=1
	ds_load_2addr_b64 v[4:7], v22 offset1:3
	s_wait_dscnt 0x0
	s_wait_alu 0xfffd
	v_dual_mov_b32 v36, v4 :: v_dual_and_b32 v9, vcc_lo, v12
	s_delay_alu instid0(VALU_DEP_1)
	v_bcnt_u32_b32 v9, v9, 0
	v_mov_b32_e32 v37, v5
	ds_load_b64 v[38:39], v33
	ds_load_b64 v[4:5], v34
	v_add3_u32 v15, v21, v9, -1
	v_add_nc_u32_e32 v9, v23, v25
	s_delay_alu instid0(VALU_DEP_2) | instskip(SKIP_1) | instid1(VALU_DEP_2)
	v_ashrrev_i32_e32 v16, 31, v15
	v_lshlrev_b32_e32 v13, 2, v15
	v_lshlrev_b64_e32 v[15:16], 2, v[15:16]
	s_delay_alu instid0(VALU_DEP_2) | instskip(SKIP_1) | instid1(VALU_DEP_2)
	v_lshlrev_b64_e32 v[40:41], 3, v[13:14]
	s_wait_kmcnt 0x0
	v_add_co_u32 v15, s0, s16, v15
	s_wait_alu 0xf1ff
	s_delay_alu instid0(VALU_DEP_3) | instskip(NEXT) | instid1(VALU_DEP_3)
	v_add_co_ci_u32_e64 v16, null, s17, v16, s0
	v_add_co_u32 v40, s0, s18, v40
	s_wait_alu 0xf1ff
	v_add_co_ci_u32_e64 v41, null, s19, v41, s0
	global_store_b32 v[15:16], v9, off
	s_wait_dscnt 0x1
	global_store_b128 v[40:41], v[36:39], off
	s_wait_dscnt 0x0
	global_store_b128 v[40:41], v[4:7], off offset:16
	s_branch .LBB17_11
.LBB17_40:
	s_endpgm
.LBB17_41:
	s_load_b32 s7, s[2:3], 0x0
	v_cndmask_b32_e64 v1, 0, 1, s8
	s_and_not1_b32 vcc_lo, exec_lo, s8
	s_cbranch_vccnz .LBB17_2
.LBB17_42:
	s_load_b32 s3, s[2:3], 0x4
	s_delay_alu instid0(VALU_DEP_1)
	v_cmp_ne_u32_e32 vcc_lo, 1, v1
	s_mov_b32 s2, s26
	s_cbranch_vccnz .LBB17_3
.LBB17_43:
	s_load_b32 s2, s[26:27], 0x0
	v_cmp_ne_u32_e32 vcc_lo, 1, v1
	s_cbranch_vccz .LBB17_4
	s_branch .LBB17_5
	.section	.rodata,"a",@progbits
	.p2align	6, 0x0
	.amdhsa_kernel _ZN9rocsparseL39bsrgeam_wf_per_row_multipass_2_3_kernelILj256ELj2ELj64E21rocsparse_complex_numIfEEEv20rocsparse_direction_iiiNS_24const_host_device_scalarIT2_EEPKiS8_PKS5_S6_S8_S8_SA_S8_PiPS5_21rocsparse_index_base_SD_SD_b
		.amdhsa_group_segment_fixed_size 8448
		.amdhsa_private_segment_fixed_size 0
		.amdhsa_kernarg_size 120
		.amdhsa_user_sgpr_count 2
		.amdhsa_user_sgpr_dispatch_ptr 0
		.amdhsa_user_sgpr_queue_ptr 0
		.amdhsa_user_sgpr_kernarg_segment_ptr 1
		.amdhsa_user_sgpr_dispatch_id 0
		.amdhsa_user_sgpr_private_segment_size 0
		.amdhsa_wavefront_size32 1
		.amdhsa_uses_dynamic_stack 0
		.amdhsa_enable_private_segment 0
		.amdhsa_system_sgpr_workgroup_id_x 1
		.amdhsa_system_sgpr_workgroup_id_y 0
		.amdhsa_system_sgpr_workgroup_id_z 0
		.amdhsa_system_sgpr_workgroup_info 0
		.amdhsa_system_vgpr_workitem_id 0
		.amdhsa_next_free_vgpr 46
		.amdhsa_next_free_sgpr 28
		.amdhsa_reserve_vcc 1
		.amdhsa_float_round_mode_32 0
		.amdhsa_float_round_mode_16_64 0
		.amdhsa_float_denorm_mode_32 3
		.amdhsa_float_denorm_mode_16_64 3
		.amdhsa_fp16_overflow 0
		.amdhsa_workgroup_processor_mode 1
		.amdhsa_memory_ordered 1
		.amdhsa_forward_progress 1
		.amdhsa_inst_pref_size 20
		.amdhsa_round_robin_scheduling 0
		.amdhsa_exception_fp_ieee_invalid_op 0
		.amdhsa_exception_fp_denorm_src 0
		.amdhsa_exception_fp_ieee_div_zero 0
		.amdhsa_exception_fp_ieee_overflow 0
		.amdhsa_exception_fp_ieee_underflow 0
		.amdhsa_exception_fp_ieee_inexact 0
		.amdhsa_exception_int_div_zero 0
	.end_amdhsa_kernel
	.section	.text._ZN9rocsparseL39bsrgeam_wf_per_row_multipass_2_3_kernelILj256ELj2ELj64E21rocsparse_complex_numIfEEEv20rocsparse_direction_iiiNS_24const_host_device_scalarIT2_EEPKiS8_PKS5_S6_S8_S8_SA_S8_PiPS5_21rocsparse_index_base_SD_SD_b,"axG",@progbits,_ZN9rocsparseL39bsrgeam_wf_per_row_multipass_2_3_kernelILj256ELj2ELj64E21rocsparse_complex_numIfEEEv20rocsparse_direction_iiiNS_24const_host_device_scalarIT2_EEPKiS8_PKS5_S6_S8_S8_SA_S8_PiPS5_21rocsparse_index_base_SD_SD_b,comdat
.Lfunc_end17:
	.size	_ZN9rocsparseL39bsrgeam_wf_per_row_multipass_2_3_kernelILj256ELj2ELj64E21rocsparse_complex_numIfEEEv20rocsparse_direction_iiiNS_24const_host_device_scalarIT2_EEPKiS8_PKS5_S6_S8_S8_SA_S8_PiPS5_21rocsparse_index_base_SD_SD_b, .Lfunc_end17-_ZN9rocsparseL39bsrgeam_wf_per_row_multipass_2_3_kernelILj256ELj2ELj64E21rocsparse_complex_numIfEEEv20rocsparse_direction_iiiNS_24const_host_device_scalarIT2_EEPKiS8_PKS5_S6_S8_S8_SA_S8_PiPS5_21rocsparse_index_base_SD_SD_b
                                        ; -- End function
	.set _ZN9rocsparseL39bsrgeam_wf_per_row_multipass_2_3_kernelILj256ELj2ELj64E21rocsparse_complex_numIfEEEv20rocsparse_direction_iiiNS_24const_host_device_scalarIT2_EEPKiS8_PKS5_S6_S8_S8_SA_S8_PiPS5_21rocsparse_index_base_SD_SD_b.num_vgpr, 46
	.set _ZN9rocsparseL39bsrgeam_wf_per_row_multipass_2_3_kernelILj256ELj2ELj64E21rocsparse_complex_numIfEEEv20rocsparse_direction_iiiNS_24const_host_device_scalarIT2_EEPKiS8_PKS5_S6_S8_S8_SA_S8_PiPS5_21rocsparse_index_base_SD_SD_b.num_agpr, 0
	.set _ZN9rocsparseL39bsrgeam_wf_per_row_multipass_2_3_kernelILj256ELj2ELj64E21rocsparse_complex_numIfEEEv20rocsparse_direction_iiiNS_24const_host_device_scalarIT2_EEPKiS8_PKS5_S6_S8_S8_SA_S8_PiPS5_21rocsparse_index_base_SD_SD_b.numbered_sgpr, 28
	.set _ZN9rocsparseL39bsrgeam_wf_per_row_multipass_2_3_kernelILj256ELj2ELj64E21rocsparse_complex_numIfEEEv20rocsparse_direction_iiiNS_24const_host_device_scalarIT2_EEPKiS8_PKS5_S6_S8_S8_SA_S8_PiPS5_21rocsparse_index_base_SD_SD_b.num_named_barrier, 0
	.set _ZN9rocsparseL39bsrgeam_wf_per_row_multipass_2_3_kernelILj256ELj2ELj64E21rocsparse_complex_numIfEEEv20rocsparse_direction_iiiNS_24const_host_device_scalarIT2_EEPKiS8_PKS5_S6_S8_S8_SA_S8_PiPS5_21rocsparse_index_base_SD_SD_b.private_seg_size, 0
	.set _ZN9rocsparseL39bsrgeam_wf_per_row_multipass_2_3_kernelILj256ELj2ELj64E21rocsparse_complex_numIfEEEv20rocsparse_direction_iiiNS_24const_host_device_scalarIT2_EEPKiS8_PKS5_S6_S8_S8_SA_S8_PiPS5_21rocsparse_index_base_SD_SD_b.uses_vcc, 1
	.set _ZN9rocsparseL39bsrgeam_wf_per_row_multipass_2_3_kernelILj256ELj2ELj64E21rocsparse_complex_numIfEEEv20rocsparse_direction_iiiNS_24const_host_device_scalarIT2_EEPKiS8_PKS5_S6_S8_S8_SA_S8_PiPS5_21rocsparse_index_base_SD_SD_b.uses_flat_scratch, 0
	.set _ZN9rocsparseL39bsrgeam_wf_per_row_multipass_2_3_kernelILj256ELj2ELj64E21rocsparse_complex_numIfEEEv20rocsparse_direction_iiiNS_24const_host_device_scalarIT2_EEPKiS8_PKS5_S6_S8_S8_SA_S8_PiPS5_21rocsparse_index_base_SD_SD_b.has_dyn_sized_stack, 0
	.set _ZN9rocsparseL39bsrgeam_wf_per_row_multipass_2_3_kernelILj256ELj2ELj64E21rocsparse_complex_numIfEEEv20rocsparse_direction_iiiNS_24const_host_device_scalarIT2_EEPKiS8_PKS5_S6_S8_S8_SA_S8_PiPS5_21rocsparse_index_base_SD_SD_b.has_recursion, 0
	.set _ZN9rocsparseL39bsrgeam_wf_per_row_multipass_2_3_kernelILj256ELj2ELj64E21rocsparse_complex_numIfEEEv20rocsparse_direction_iiiNS_24const_host_device_scalarIT2_EEPKiS8_PKS5_S6_S8_S8_SA_S8_PiPS5_21rocsparse_index_base_SD_SD_b.has_indirect_call, 0
	.section	.AMDGPU.csdata,"",@progbits
; Kernel info:
; codeLenInByte = 2528
; TotalNumSgprs: 30
; NumVgprs: 46
; ScratchSize: 0
; MemoryBound: 0
; FloatMode: 240
; IeeeMode: 1
; LDSByteSize: 8448 bytes/workgroup (compile time only)
; SGPRBlocks: 0
; VGPRBlocks: 5
; NumSGPRsForWavesPerEU: 30
; NumVGPRsForWavesPerEU: 46
; Occupancy: 16
; WaveLimiterHint : 1
; COMPUTE_PGM_RSRC2:SCRATCH_EN: 0
; COMPUTE_PGM_RSRC2:USER_SGPR: 2
; COMPUTE_PGM_RSRC2:TRAP_HANDLER: 0
; COMPUTE_PGM_RSRC2:TGID_X_EN: 1
; COMPUTE_PGM_RSRC2:TGID_Y_EN: 0
; COMPUTE_PGM_RSRC2:TGID_Z_EN: 0
; COMPUTE_PGM_RSRC2:TIDIG_COMP_CNT: 0
	.section	.text._ZN9rocsparseL39bsrgeam_wf_per_row_multipass_2_3_kernelILj256ELj3ELj32E21rocsparse_complex_numIfEEEv20rocsparse_direction_iiiNS_24const_host_device_scalarIT2_EEPKiS8_PKS5_S6_S8_S8_SA_S8_PiPS5_21rocsparse_index_base_SD_SD_b,"axG",@progbits,_ZN9rocsparseL39bsrgeam_wf_per_row_multipass_2_3_kernelILj256ELj3ELj32E21rocsparse_complex_numIfEEEv20rocsparse_direction_iiiNS_24const_host_device_scalarIT2_EEPKiS8_PKS5_S6_S8_S8_SA_S8_PiPS5_21rocsparse_index_base_SD_SD_b,comdat
	.globl	_ZN9rocsparseL39bsrgeam_wf_per_row_multipass_2_3_kernelILj256ELj3ELj32E21rocsparse_complex_numIfEEEv20rocsparse_direction_iiiNS_24const_host_device_scalarIT2_EEPKiS8_PKS5_S6_S8_S8_SA_S8_PiPS5_21rocsparse_index_base_SD_SD_b ; -- Begin function _ZN9rocsparseL39bsrgeam_wf_per_row_multipass_2_3_kernelILj256ELj3ELj32E21rocsparse_complex_numIfEEEv20rocsparse_direction_iiiNS_24const_host_device_scalarIT2_EEPKiS8_PKS5_S6_S8_S8_SA_S8_PiPS5_21rocsparse_index_base_SD_SD_b
	.p2align	8
	.type	_ZN9rocsparseL39bsrgeam_wf_per_row_multipass_2_3_kernelILj256ELj3ELj32E21rocsparse_complex_numIfEEEv20rocsparse_direction_iiiNS_24const_host_device_scalarIT2_EEPKiS8_PKS5_S6_S8_S8_SA_S8_PiPS5_21rocsparse_index_base_SD_SD_b,@function
_ZN9rocsparseL39bsrgeam_wf_per_row_multipass_2_3_kernelILj256ELj3ELj32E21rocsparse_complex_numIfEEEv20rocsparse_direction_iiiNS_24const_host_device_scalarIT2_EEPKiS8_PKS5_S6_S8_S8_SA_S8_PiPS5_21rocsparse_index_base_SD_SD_b: ; @_ZN9rocsparseL39bsrgeam_wf_per_row_multipass_2_3_kernelILj256ELj3ELj32E21rocsparse_complex_numIfEEEv20rocsparse_direction_iiiNS_24const_host_device_scalarIT2_EEPKiS8_PKS5_S6_S8_S8_SA_S8_PiPS5_21rocsparse_index_base_SD_SD_b
; %bb.0:
	s_clause 0x2
	s_load_b128 s[4:7], s[0:1], 0x68
	s_load_b64 s[2:3], s[0:1], 0x10
	s_load_b64 s[22:23], s[0:1], 0x30
	s_wait_kmcnt 0x0
	s_bitcmp1_b32 s7, 0
	s_cselect_b32 s7, -1, 0
	s_delay_alu instid0(SALU_CYCLE_1)
	s_xor_b32 s8, s7, -1
	s_and_b32 vcc_lo, exec_lo, s7
	s_mov_b32 s7, s2
	s_cbranch_vccz .LBB18_41
; %bb.1:
	v_cndmask_b32_e64 v1, 0, 1, s8
	s_and_not1_b32 vcc_lo, exec_lo, s8
	s_cbranch_vccz .LBB18_42
.LBB18_2:
	s_delay_alu instid0(VALU_DEP_1)
	v_cmp_ne_u32_e32 vcc_lo, 1, v1
	s_mov_b32 s2, s22
	s_cbranch_vccz .LBB18_43
.LBB18_3:
	v_cmp_ne_u32_e32 vcc_lo, 1, v1
	s_cbranch_vccnz .LBB18_5
.LBB18_4:
	s_load_b32 s23, s[22:23], 0x4
.LBB18_5:
	s_load_b96 s[20:22], s[0:1], 0x0
	v_lshrrev_b32_e32 v8, 5, v0
	s_lshl_b32 s8, ttmp9, 3
	s_wait_alu 0xfffe
	s_delay_alu instid0(VALU_DEP_1) | instskip(SKIP_2) | instid1(VALU_DEP_1)
	v_and_or_b32 v1, 0x7fffff8, s8, v8
	s_mov_b32 s8, exec_lo
	s_wait_kmcnt 0x0
	v_cmpx_gt_i32_e64 s21, v1
	s_cbranch_execz .LBB18_40
; %bb.6:
	s_clause 0x2
	s_load_b128 s[8:11], s[0:1], 0x18
	s_load_b128 s[12:15], s[0:1], 0x38
	s_load_b64 s[16:17], s[0:1], 0x50
	v_lshlrev_b32_e32 v1, 2, v1
	s_wait_kmcnt 0x0
	s_clause 0x2
	global_load_b64 v[2:3], v1, s[8:9]
	global_load_b64 v[4:5], v1, s[12:13]
	global_load_b32 v9, v1, s[16:17]
	s_wait_loadcnt 0x2
	v_subrev_nc_u32_e32 v1, s4, v2
	v_cmp_lt_i32_e32 vcc_lo, v2, v3
	v_mov_b32_e32 v2, s22
	s_and_saveexec_b32 s8, vcc_lo
	s_cbranch_execz .LBB18_8
; %bb.7:
	v_ashrrev_i32_e32 v2, 31, v1
	s_delay_alu instid0(VALU_DEP_1) | instskip(NEXT) | instid1(VALU_DEP_1)
	v_lshlrev_b64_e32 v[6:7], 2, v[1:2]
	v_add_co_u32 v6, vcc_lo, s10, v6
	s_delay_alu instid0(VALU_DEP_1)
	v_add_co_ci_u32_e64 v7, null, s11, v7, vcc_lo
	global_load_b32 v2, v[6:7], off
	s_wait_loadcnt 0x0
	v_subrev_nc_u32_e32 v2, s4, v2
.LBB18_8:
	s_wait_alu 0xfffe
	s_or_b32 exec_lo, exec_lo, s8
	s_clause 0x2
	s_load_b128 s[16:19], s[0:1], 0x58
	s_load_b64 s[8:9], s[0:1], 0x28
	s_load_b64 s[12:13], s[0:1], 0x48
	s_wait_loadcnt 0x1
	v_subrev_nc_u32_e32 v6, s5, v4
	v_cmp_lt_i32_e32 vcc_lo, v4, v5
	v_mov_b32_e32 v4, s22
	s_and_saveexec_b32 s0, vcc_lo
	s_cbranch_execz .LBB18_10
; %bb.9:
	v_ashrrev_i32_e32 v7, 31, v6
	s_delay_alu instid0(VALU_DEP_1) | instskip(NEXT) | instid1(VALU_DEP_1)
	v_lshlrev_b64_e32 v[10:11], 2, v[6:7]
	v_add_co_u32 v10, vcc_lo, s14, v10
	s_wait_alu 0xfffd
	s_delay_alu instid0(VALU_DEP_2)
	v_add_co_ci_u32_e64 v11, null, s15, v11, vcc_lo
	global_load_b32 v4, v[10:11], off
	s_wait_loadcnt 0x0
	v_subrev_nc_u32_e32 v4, s5, v4
.LBB18_10:
	s_or_b32 exec_lo, exec_lo, s0
	v_and_b32_e32 v7, 31, v0
	s_movk_i32 s0, 0xe0
	s_delay_alu instid0(VALU_DEP_2)
	v_min_i32_e32 v43, v4, v2
	v_and_or_b32 v27, v0, s0, 0x4800
	v_subrev_nc_u32_e32 v29, s4, v3
	v_mul_u32_u24_e32 v0, 0x48, v7
	v_subrev_nc_u32_e32 v30, s5, v5
	v_mul_u32_u24_e32 v28, 0x900, v8
	s_mov_b32 s24, 0
	s_wait_loadcnt 0x0
	v_subrev_nc_u32_e32 v31, s6, v9
	v_mad_u32_u24 v32, 0x900, v8, v0
	v_mbcnt_lo_u32_b32 v0, -1, 0
	s_mov_b32 s26, s24
	s_mov_b32 s25, s24
	;; [unrolled: 1-line block ×3, first 2 shown]
	s_cmp_lg_u32 s20, 0
	v_xor_b32_e32 v2, 16, v0
	v_xor_b32_e32 v3, 4, v0
	;; [unrolled: 1-line block ×4, first 2 shown]
	s_cselect_b32 s1, -1, 0
	v_cmp_gt_i32_e32 vcc_lo, 32, v2
	s_cmp_eq_u32 s20, 0
	v_mov_b32_e32 v9, s24
	s_cselect_b32 s20, 16, 48
	s_cselect_b32 s21, 24, 8
	s_wait_alu 0xfffd
	v_cndmask_b32_e32 v2, v0, v2, vcc_lo
	v_add_nc_u32_e32 v4, v1, v7
	v_xor_b32_e32 v1, 31, v7
	v_add_nc_u32_e32 v34, s6, v7
	s_cselect_b32 s6, 8, 24
	v_mov_b32_e32 v11, s26
	v_lshlrev_b32_e32 v35, 2, v2
	v_lshrrev_b32_e64 v33, v1, -1
	v_xor_b32_e32 v1, 8, v0
	v_dual_mov_b32 v12, s27 :: v_dual_mov_b32 v41, 1
	s_cselect_b32 s26, 48, 16
	s_cselect_b32 s27, 56, 40
	s_delay_alu instid0(VALU_DEP_2)
	v_cmp_gt_i32_e32 vcc_lo, 32, v1
	v_mov_b32_e32 v10, s25
	s_cselect_b32 s25, 40, 56
	s_wait_alu 0xfffd
	v_cndmask_b32_e32 v1, v0, v1, vcc_lo
	v_cmp_gt_i32_e32 vcc_lo, 32, v3
	s_wait_alu 0xfffd
	s_delay_alu instid0(VALU_DEP_2) | instskip(SKIP_2) | instid1(VALU_DEP_3)
	v_dual_cndmask_b32 v3, v0, v3 :: v_dual_lshlrev_b32 v36, 2, v1
	v_cmp_gt_i32_e32 vcc_lo, 32, v5
	v_add_nc_u32_e32 v6, v6, v7
	v_lshlrev_b32_e32 v37, 2, v3
	s_wait_alu 0xfffd
	v_cndmask_b32_e32 v5, v0, v5, vcc_lo
	v_cmp_gt_i32_e32 vcc_lo, 32, v8
	s_delay_alu instid0(VALU_DEP_2) | instskip(SKIP_4) | instid1(VALU_DEP_3)
	v_lshlrev_b32_e32 v38, 2, v5
	s_wait_alu 0xfffd
	v_cndmask_b32_e32 v0, v0, v8, vcc_lo
	v_mov_b32_e32 v8, 0
	v_add_nc_u32_e32 v40, v27, v7
	v_lshlrev_b32_e32 v39, 2, v0
	s_delay_alu instid0(VALU_DEP_3)
	v_dual_mov_b32 v13, v8 :: v_dual_mov_b32 v14, v8
	s_branch .LBB18_12
.LBB18_11:                              ;   in Loop: Header=BB18_12 Depth=1
	s_wait_alu 0xfffe
	s_or_b32 exec_lo, exec_lo, s28
	ds_bpermute_b32 v0, v35, v42
	s_bcnt1_i32_b32 s28, vcc_lo
	s_wait_alu 0xfffe
	v_add_nc_u32_e32 v31, s28, v31
	s_wait_dscnt 0x0
	v_min_i32_e32 v0, v0, v42
	ds_bpermute_b32 v1, v36, v0
	s_wait_dscnt 0x0
	v_min_i32_e32 v0, v1, v0
	ds_bpermute_b32 v1, v37, v0
	;; [unrolled: 3-line block ×4, first 2 shown]
	s_wait_dscnt 0x0
	v_min_i32_e32 v43, v1, v0
	s_delay_alu instid0(VALU_DEP_1)
	v_cmp_le_i32_e64 s0, s22, v43
	s_or_b32 s24, s0, s24
	s_wait_alu 0xfffe
	s_and_not1_b32 exec_lo, exec_lo, s24
	s_cbranch_execz .LBB18_40
.LBB18_12:                              ; =>This Loop Header: Depth=1
                                        ;     Child Loop BB18_15 Depth 2
                                        ;     Child Loop BB18_28 Depth 2
	v_mov_b32_e32 v42, s22
	s_mov_b32 s28, exec_lo
	ds_store_2addr_b64 v32, v[9:10], v[11:12] offset1:1
	ds_store_2addr_b64 v32, v[9:10], v[11:12] offset0:2 offset1:3
	ds_store_2addr_b64 v32, v[9:10], v[11:12] offset0:4 offset1:5
	;; [unrolled: 1-line block ×3, first 2 shown]
	ds_store_b8 v40, v8
	ds_store_b64 v32, v[13:14] offset:64
	s_wait_dscnt 0x0
	global_inv scope:SCOPE_SE
	v_cmpx_lt_i32_e64 v4, v29
	s_cbranch_execz .LBB18_25
; %bb.13:                               ;   in Loop: Header=BB18_12 Depth=1
	v_mad_co_u64_u32 v[0:1], null, v4, 9, 8
	v_mov_b32_e32 v42, s22
	s_mov_b32 s29, 0
	s_branch .LBB18_15
.LBB18_14:                              ;   in Loop: Header=BB18_15 Depth=2
	s_or_b32 exec_lo, exec_lo, s31
	s_delay_alu instid0(SALU_CYCLE_1)
	s_and_b32 s0, exec_lo, s30
	s_wait_alu 0xfffe
	s_or_b32 s29, s0, s29
	s_wait_alu 0xfffe
	s_and_not1_b32 exec_lo, exec_lo, s29
	s_cbranch_execz .LBB18_24
.LBB18_15:                              ;   Parent Loop BB18_12 Depth=1
                                        ; =>  This Inner Loop Header: Depth=2
	v_ashrrev_i32_e32 v5, 31, v4
	s_mov_b32 s30, exec_lo
	s_delay_alu instid0(VALU_DEP_1) | instskip(NEXT) | instid1(VALU_DEP_1)
	v_lshlrev_b64_e32 v[1:2], 2, v[4:5]
	v_add_co_u32 v1, vcc_lo, s10, v1
	s_wait_alu 0xfffd
	s_delay_alu instid0(VALU_DEP_2) | instskip(SKIP_3) | instid1(VALU_DEP_1)
	v_add_co_ci_u32_e64 v2, null, s11, v2, vcc_lo
	global_load_b32 v1, v[1:2], off
	s_wait_loadcnt 0x0
	v_subrev_nc_u32_e32 v2, s4, v1
	v_sub_nc_u32_e32 v1, v2, v43
	s_delay_alu instid0(VALU_DEP_1)
	v_cmp_gt_u32_e64 s0, 32, v1
	v_cmpx_lt_u32_e32 31, v1
	s_xor_b32 s30, exec_lo, s30
; %bb.16:                               ;   in Loop: Header=BB18_15 Depth=2
	v_min_i32_e32 v42, v2, v42
                                        ; implicit-def: $vgpr1
; %bb.17:                               ;   in Loop: Header=BB18_15 Depth=2
	s_and_not1_saveexec_b32 s30, s30
	s_cbranch_execz .LBB18_22
; %bb.18:                               ;   in Loop: Header=BB18_15 Depth=2
	v_add_nc_u32_e32 v7, -8, v0
	v_add_nc_u32_e32 v15, -2, v0
	;; [unrolled: 1-line block ×5, first 2 shown]
	v_lshlrev_b64_e32 v[2:3], 3, v[7:8]
	v_add_nc_u32_e32 v7, -5, v0
	s_mov_b32 s31, -1
	s_wait_kmcnt 0x0
	s_delay_alu instid0(VALU_DEP_2)
	v_add_co_u32 v2, vcc_lo, s8, v2
	s_wait_alu 0xfffd
	v_add_co_ci_u32_e64 v3, null, s9, v3, vcc_lo
	s_wait_alu 0xfffe
	s_and_not1_b32 vcc_lo, exec_lo, s1
	global_load_b64 v[16:17], v[2:3], off
	s_wait_loadcnt 0x0
	v_dual_mul_f32 v25, s7, v17 :: v_dual_add_nc_u32 v2, -1, v0
	v_mul_f32_e64 v24, v17, -s3
	v_add_nc_u32_e32 v3, v27, v1
	v_mul_lo_u32 v1, 0x48, v1
	v_add_nc_u32_e32 v17, -3, v0
	v_fmac_f32_e32 v25, s3, v16
	s_delay_alu instid0(VALU_DEP_3)
	v_dual_fmac_f32 v24, s7, v16 :: v_dual_add_nc_u32 v5, v28, v1
	ds_store_b8 v3, v41
	ds_store_b64 v5, v[24:25]
	s_wait_alu 0xfffe
	s_cbranch_vccnz .LBB18_20
; %bb.19:                               ;   in Loop: Header=BB18_15 Depth=2
	v_dual_mov_b32 v16, v8 :: v_dual_mov_b32 v3, v8
	v_dual_mov_b32 v24, v8 :: v_dual_mov_b32 v1, v8
	v_lshlrev_b64_e32 v[25:26], 3, v[7:8]
	v_mov_b32_e32 v20, v8
	s_delay_alu instid0(VALU_DEP_4) | instskip(NEXT) | instid1(VALU_DEP_4)
	v_lshlrev_b64_e32 v[44:45], 3, v[15:16]
	v_lshlrev_b64_e32 v[46:47], 3, v[23:24]
	v_lshlrev_b64_e32 v[50:51], 3, v[2:3]
	v_lshlrev_b64_e32 v[56:57], 3, v[0:1]
	v_add_co_u32 v24, vcc_lo, s8, v25
	v_lshlrev_b64_e32 v[48:49], 3, v[19:20]
	s_wait_alu 0xfffd
	v_add_co_ci_u32_e64 v25, null, s9, v26, vcc_lo
	v_add_co_u32 v44, vcc_lo, s8, v44
	s_wait_alu 0xfffd
	v_add_co_ci_u32_e64 v45, null, s9, v45, vcc_lo
	v_add_co_u32 v46, vcc_lo, s8, v46
	;; [unrolled: 3-line block ×4, first 2 shown]
	s_wait_alu 0xfffd
	v_add_co_ci_u32_e64 v51, null, s9, v51, vcc_lo
	s_clause 0x4
	global_load_b64 v[24:25], v[24:25], off
	global_load_b64 v[44:45], v[44:45], off
	;; [unrolled: 1-line block ×5, first 2 shown]
	v_mov_b32_e32 v18, v8
	s_mov_b32 s31, 0
	s_wait_loadcnt 0x4
	v_dual_mul_f32 v59, s7, v25 :: v_dual_mov_b32 v22, v8
	v_mul_f32_e64 v58, v25, -s3
	s_wait_loadcnt 0x3
	v_mul_f32_e32 v25, s7, v45
	v_lshlrev_b64_e32 v[54:55], 3, v[17:18]
	v_fmac_f32_e32 v59, s3, v24
	v_lshlrev_b64_e32 v[52:53], 3, v[21:22]
	s_wait_loadcnt 0x2
	v_dual_fmac_f32 v58, s7, v24 :: v_dual_mul_f32 v61, s7, v47
	v_mul_f32_e64 v24, v45, -s3
	v_mul_f32_e64 v60, v47, -s3
	s_wait_loadcnt 0x1
	v_mul_f32_e64 v62, v49, -s3
	v_add_co_u32 v52, vcc_lo, s8, v52
	s_wait_alu 0xfffd
	v_add_co_ci_u32_e64 v53, null, s9, v53, vcc_lo
	v_add_co_u32 v54, vcc_lo, s8, v54
	s_wait_alu 0xfffd
	v_add_co_ci_u32_e64 v55, null, s9, v55, vcc_lo
	;; [unrolled: 3-line block ×3, first 2 shown]
	s_clause 0x2
	global_load_b64 v[52:53], v[52:53], off
	global_load_b64 v[54:55], v[54:55], off
	global_load_b64 v[56:57], v[56:57], off
	v_dual_mul_f32 v63, s7, v49 :: v_dual_fmac_f32 v24, s7, v44
	s_wait_loadcnt 0x3
	v_mul_f32_e64 v64, v51, -s3
	v_dual_mul_f32 v65, s7, v51 :: v_dual_fmac_f32 v60, s7, v46
	s_delay_alu instid0(VALU_DEP_3) | instskip(SKIP_1) | instid1(VALU_DEP_4)
	v_fmac_f32_e32 v63, s3, v48
	v_fmac_f32_e32 v62, s7, v48
	;; [unrolled: 1-line block ×3, first 2 shown]
	s_delay_alu instid0(VALU_DEP_4)
	v_fmac_f32_e32 v65, s3, v50
	s_wait_loadcnt 0x2
	v_mul_f32_e64 v66, v53, -s3
	v_mul_f32_e32 v67, s7, v53
	s_wait_loadcnt 0x1
	v_mul_f32_e64 v68, v55, -s3
	v_mul_f32_e32 v69, s7, v55
	s_wait_loadcnt 0x0
	v_mul_f32_e64 v70, v57, -s3
	v_dual_mul_f32 v71, s7, v57 :: v_dual_fmac_f32 v66, s7, v52
	v_dual_fmac_f32 v25, s3, v44 :: v_dual_fmac_f32 v68, s7, v54
	s_delay_alu instid0(VALU_DEP_3)
	v_dual_fmac_f32 v61, s3, v46 :: v_dual_fmac_f32 v70, s7, v56
	v_fmac_f32_e32 v67, s3, v52
	v_fmac_f32_e32 v69, s3, v54
	;; [unrolled: 1-line block ×3, first 2 shown]
	ds_store_2addr_b64 v5, v[58:59], v[24:25] offset0:1 offset1:2
	ds_store_2addr_b64 v5, v[60:61], v[62:63] offset0:3 offset1:4
	;; [unrolled: 1-line block ×4, first 2 shown]
.LBB18_20:                              ;   in Loop: Header=BB18_15 Depth=2
	s_and_not1_b32 vcc_lo, exec_lo, s31
	s_wait_alu 0xfffe
	s_cbranch_vccnz .LBB18_22
; %bb.21:                               ;   in Loop: Header=BB18_15 Depth=2
	v_dual_mov_b32 v24, v8 :: v_dual_mov_b32 v3, v8
	v_dual_mov_b32 v22, v8 :: v_dual_mov_b32 v1, v8
	v_mov_b32_e32 v20, v8
	s_delay_alu instid0(VALU_DEP_3) | instskip(SKIP_1) | instid1(VALU_DEP_4)
	v_lshlrev_b64_e32 v[23:24], 3, v[23:24]
	v_mov_b32_e32 v18, v8
	v_lshlrev_b64_e32 v[21:22], 3, v[21:22]
	v_lshlrev_b64_e32 v[25:26], 3, v[7:8]
	;; [unrolled: 1-line block ×4, first 2 shown]
	v_add_co_u32 v23, vcc_lo, s8, v23
	s_wait_alu 0xfffd
	v_add_co_ci_u32_e64 v24, null, s9, v24, vcc_lo
	v_add_co_u32 v21, vcc_lo, s8, v21
	v_lshlrev_b64_e32 v[17:18], 3, v[17:18]
	s_wait_alu 0xfffd
	v_add_co_ci_u32_e64 v22, null, s9, v22, vcc_lo
	v_add_co_u32 v25, vcc_lo, s8, v25
	s_wait_alu 0xfffd
	v_add_co_ci_u32_e64 v26, null, s9, v26, vcc_lo
	v_add_co_u32 v19, vcc_lo, s8, v19
	;; [unrolled: 3-line block ×3, first 2 shown]
	s_wait_alu 0xfffd
	v_add_co_ci_u32_e64 v18, null, s9, v18, vcc_lo
	s_clause 0x4
	global_load_b64 v[23:24], v[23:24], off
	global_load_b64 v[21:22], v[21:22], off
	;; [unrolled: 1-line block ×5, first 2 shown]
	v_mov_b32_e32 v16, v8
	v_lshlrev_b64_e32 v[44:45], 3, v[0:1]
	s_wait_loadcnt 0x4
	v_mul_f32_e64 v46, v24, -s3
	v_mul_f32_e32 v47, s7, v24
	s_wait_loadcnt 0x2
	v_mul_f32_e32 v51, s7, v26
	v_lshlrev_b64_e32 v[15:16], 3, v[15:16]
	v_mul_f32_e64 v48, v22, -s3
	v_mul_f32_e32 v49, s7, v22
	v_mul_f32_e64 v50, v26, -s3
	s_wait_loadcnt 0x1
	v_mul_f32_e64 v52, v20, -s3
	v_dual_mul_f32 v53, s7, v20 :: v_dual_fmac_f32 v46, s7, v23
	v_add_co_u32 v15, vcc_lo, s8, v15
	s_wait_alu 0xfffd
	v_add_co_ci_u32_e64 v16, null, s9, v16, vcc_lo
	v_add_co_u32 v1, vcc_lo, s8, v2
	s_wait_alu 0xfffd
	v_add_co_ci_u32_e64 v2, null, s9, v3, vcc_lo
	;; [unrolled: 3-line block ×3, first 2 shown]
	s_clause 0x2
	global_load_b64 v[15:16], v[15:16], off
	global_load_b64 v[1:2], v[1:2], off
	;; [unrolled: 1-line block ×3, first 2 shown]
	s_wait_loadcnt 0x3
	v_mul_f32_e64 v54, v18, -s3
	v_dual_mul_f32 v55, s7, v18 :: v_dual_fmac_f32 v48, s7, v21
	v_fmac_f32_e32 v47, s3, v23
	v_fmac_f32_e32 v51, s3, v25
	s_delay_alu instid0(VALU_DEP_4) | instskip(NEXT) | instid1(VALU_DEP_4)
	v_fmac_f32_e32 v54, s7, v17
	v_fmac_f32_e32 v55, s3, v17
	v_fmac_f32_e32 v50, s7, v25
	v_fmac_f32_e32 v52, s7, v19
	s_wait_loadcnt 0x2
	v_mul_f32_e64 v56, v16, -s3
	v_mul_f32_e32 v57, s7, v16
	s_wait_loadcnt 0x1
	v_mul_f32_e64 v58, v2, -s3
	v_mul_f32_e32 v59, s7, v2
	s_wait_loadcnt 0x0
	v_mul_f32_e64 v2, v45, -s3
	v_dual_mul_f32 v3, s7, v45 :: v_dual_fmac_f32 v56, s7, v15
	v_fmac_f32_e32 v49, s3, v21
	v_dual_fmac_f32 v53, s3, v19 :: v_dual_fmac_f32 v58, s7, v1
	v_fmac_f32_e32 v57, s3, v15
	v_dual_fmac_f32 v59, s3, v1 :: v_dual_fmac_f32 v2, s7, v44
	v_fmac_f32_e32 v3, s3, v44
	ds_store_2addr_b64 v5, v[46:47], v[48:49] offset0:1 offset1:2
	ds_store_2addr_b64 v5, v[50:51], v[52:53] offset0:3 offset1:4
	;; [unrolled: 1-line block ×4, first 2 shown]
.LBB18_22:                              ;   in Loop: Header=BB18_15 Depth=2
	s_or_b32 exec_lo, exec_lo, s30
	s_mov_b32 s30, -1
	s_and_saveexec_b32 s31, s0
	s_cbranch_execz .LBB18_14
; %bb.23:                               ;   in Loop: Header=BB18_15 Depth=2
	v_add_nc_u32_e32 v4, 32, v4
	v_add_nc_u32_e32 v0, 0x120, v0
	s_delay_alu instid0(VALU_DEP_2)
	v_cmp_ge_i32_e32 vcc_lo, v4, v29
	s_or_not1_b32 s30, vcc_lo, exec_lo
	s_branch .LBB18_14
.LBB18_24:                              ;   in Loop: Header=BB18_12 Depth=1
	s_or_b32 exec_lo, exec_lo, s29
.LBB18_25:                              ;   in Loop: Header=BB18_12 Depth=1
	s_wait_alu 0xfffe
	s_or_b32 exec_lo, exec_lo, s28
	s_delay_alu instid0(SALU_CYCLE_1)
	s_mov_b32 s28, exec_lo
	s_wait_loadcnt_dscnt 0x0
	global_inv scope:SCOPE_SE
	v_cmpx_lt_i32_e64 v6, v30
	s_cbranch_execz .LBB18_38
; %bb.26:                               ;   in Loop: Header=BB18_12 Depth=1
	v_mad_co_u64_u32 v[15:16], null, v6, 9, 8
	s_mov_b32 s29, 0
	s_branch .LBB18_28
.LBB18_27:                              ;   in Loop: Header=BB18_28 Depth=2
	s_or_b32 exec_lo, exec_lo, s31
	s_delay_alu instid0(SALU_CYCLE_1)
	s_and_b32 s0, exec_lo, s30
	s_wait_alu 0xfffe
	s_or_b32 s29, s0, s29
	s_wait_alu 0xfffe
	s_and_not1_b32 exec_lo, exec_lo, s29
	s_cbranch_execz .LBB18_37
.LBB18_28:                              ;   Parent Loop BB18_12 Depth=1
                                        ; =>  This Inner Loop Header: Depth=2
	v_ashrrev_i32_e32 v7, 31, v6
	s_mov_b32 s30, exec_lo
	s_delay_alu instid0(VALU_DEP_1) | instskip(NEXT) | instid1(VALU_DEP_1)
	v_lshlrev_b64_e32 v[0:1], 2, v[6:7]
	v_add_co_u32 v0, vcc_lo, s14, v0
	s_wait_alu 0xfffd
	s_delay_alu instid0(VALU_DEP_2) | instskip(SKIP_3) | instid1(VALU_DEP_1)
	v_add_co_ci_u32_e64 v1, null, s15, v1, vcc_lo
	global_load_b32 v0, v[0:1], off
	s_wait_loadcnt 0x0
	v_subrev_nc_u32_e32 v0, s5, v0
	v_sub_nc_u32_e32 v16, v0, v43
	s_delay_alu instid0(VALU_DEP_1)
	v_cmp_gt_u32_e64 s0, 32, v16
	v_cmpx_lt_u32_e32 31, v16
	s_xor_b32 s30, exec_lo, s30
; %bb.29:                               ;   in Loop: Header=BB18_28 Depth=2
	v_min_i32_e32 v42, v0, v42
                                        ; implicit-def: $vgpr16
; %bb.30:                               ;   in Loop: Header=BB18_28 Depth=2
	s_and_not1_saveexec_b32 s30, s30
	s_cbranch_execz .LBB18_35
; %bb.31:                               ;   in Loop: Header=BB18_28 Depth=2
	v_add_nc_u32_e32 v7, -8, v15
	v_add_nc_u32_e32 v17, -2, v15
	;; [unrolled: 1-line block ×5, first 2 shown]
	v_lshlrev_b64_e32 v[0:1], 3, v[7:8]
	v_add_nc_u32_e32 v7, -5, v15
	s_mov_b32 s31, -1
	s_wait_kmcnt 0x0
	s_delay_alu instid0(VALU_DEP_2)
	v_add_co_u32 v0, vcc_lo, s12, v0
	s_wait_alu 0xfffd
	v_add_co_ci_u32_e64 v1, null, s13, v1, vcc_lo
	s_and_not1_b32 vcc_lo, exec_lo, s1
	global_load_b64 v[18:19], v[0:1], off
	v_mul_lo_u32 v0, 0x48, v16
	s_delay_alu instid0(VALU_DEP_1)
	v_add_nc_u32_e32 v5, v28, v0
	ds_load_2addr_b64 v[0:3], v5 offset1:1
	s_wait_loadcnt_dscnt 0x0
	v_fma_f32 v20, s2, v18, v0
	v_fma_f32 v45, s23, v18, v1
	v_add_nc_u32_e32 v16, v27, v16
	v_add_nc_u32_e32 v0, -1, v15
	s_delay_alu instid0(VALU_DEP_4) | instskip(NEXT) | instid1(VALU_DEP_4)
	v_fma_f32 v44, -s23, v19, v20
	v_fmac_f32_e32 v45, s2, v19
	v_add_nc_u32_e32 v19, -3, v15
	ds_store_b8 v16, v41
	ds_store_b64 v5, v[44:45]
	s_wait_alu 0xfffe
	s_cbranch_vccnz .LBB18_33
; %bb.32:                               ;   in Loop: Header=BB18_28 Depth=2
	v_dual_mov_b32 v18, v8 :: v_dual_mov_b32 v1, v8
	v_mov_b32_e32 v26, v8
	v_lshlrev_b64_e32 v[44:45], 3, v[7:8]
	v_mov_b32_e32 v22, v8
	s_delay_alu instid0(VALU_DEP_4)
	v_lshlrev_b64_e32 v[46:47], 3, v[17:18]
	v_lshlrev_b64_e32 v[52:53], 3, v[0:1]
	;; [unrolled: 1-line block ×3, first 2 shown]
	v_mov_b32_e32 v20, v8
	v_add_co_u32 v44, vcc_lo, s12, v44
	v_lshlrev_b64_e32 v[50:51], 3, v[21:22]
	s_wait_alu 0xfffd
	v_add_co_ci_u32_e64 v45, null, s13, v45, vcc_lo
	v_add_co_u32 v46, vcc_lo, s12, v46
	s_wait_alu 0xfffd
	v_add_co_ci_u32_e64 v47, null, s13, v47, vcc_lo
	v_add_co_u32 v48, vcc_lo, s12, v48
	;; [unrolled: 3-line block ×4, first 2 shown]
	s_wait_alu 0xfffd
	v_add_co_ci_u32_e64 v53, null, s13, v53, vcc_lo
	s_clause 0x4
	global_load_b64 v[56:57], v[44:45], off
	global_load_b64 v[58:59], v[46:47], off
	;; [unrolled: 1-line block ×5, first 2 shown]
	v_mov_b32_e32 v24, v8
	v_mov_b32_e32 v16, v8
	v_lshlrev_b64_e32 v[44:45], 3, v[19:20]
	s_mov_b32 s31, 0
	s_delay_alu instid0(VALU_DEP_3) | instskip(NEXT) | instid1(VALU_DEP_3)
	v_lshlrev_b64_e32 v[54:55], 3, v[23:24]
	v_lshlrev_b64_e32 v[48:49], 3, v[15:16]
	s_delay_alu instid0(VALU_DEP_2) | instskip(SKIP_1) | instid1(VALU_DEP_3)
	v_add_co_u32 v46, vcc_lo, s12, v54
	s_wait_alu 0xfffd
	v_add_co_ci_u32_e64 v47, null, s13, v55, vcc_lo
	v_add_co_u32 v44, vcc_lo, s12, v44
	s_wait_alu 0xfffd
	v_add_co_ci_u32_e64 v45, null, s13, v45, vcc_lo
	;; [unrolled: 3-line block ×3, first 2 shown]
	s_clause 0x2
	global_load_b64 v[66:67], v[46:47], off
	global_load_b64 v[68:69], v[44:45], off
	;; [unrolled: 1-line block ×3, first 2 shown]
	ds_load_2addr_b64 v[44:47], v5 offset0:2 offset1:3
	ds_load_2addr_b64 v[48:51], v5 offset0:4 offset1:5
	;; [unrolled: 1-line block ×3, first 2 shown]
	ds_load_b64 v[72:73], v5 offset:64
	s_wait_loadcnt 0x7
	v_fma_f32 v1, s2, v56, v2
	v_fma_f32 v75, s23, v56, v3
	s_wait_loadcnt_dscnt 0x603
	v_fma_f32 v45, s23, v58, v45
	s_wait_loadcnt 0x5
	v_fma_f32 v16, s2, v60, v46
	v_fmac_f32_e32 v47, s23, v60
	v_fma_f32 v74, -s23, v57, v1
	v_fma_f32 v1, s2, v58, v44
	s_wait_loadcnt_dscnt 0x402
	v_fma_f32 v18, s2, v62, v48
	v_fma_f32 v49, s23, v62, v49
	s_wait_loadcnt 0x3
	v_fma_f32 v20, s2, v64, v50
	v_fmac_f32_e32 v51, s23, v64
	v_fmac_f32_e32 v75, s2, v57
	v_fma_f32 v44, -s23, v59, v1
	v_fmac_f32_e32 v45, s2, v59
	v_fma_f32 v46, -s23, v61, v16
	;; [unrolled: 2-line block ×4, first 2 shown]
	v_fmac_f32_e32 v51, s2, v65
	s_wait_loadcnt_dscnt 0x201
	v_fma_f32 v22, s2, v66, v52
	v_fma_f32 v53, s23, v66, v53
	s_wait_loadcnt 0x1
	v_fma_f32 v24, s2, v68, v54
	v_fmac_f32_e32 v55, s23, v68
	s_wait_loadcnt_dscnt 0x0
	v_fma_f32 v26, s2, v70, v72
	v_fmac_f32_e32 v73, s23, v70
	v_fma_f32 v52, -s23, v67, v22
	v_fmac_f32_e32 v53, s2, v67
	v_fma_f32 v54, -s23, v69, v24
	;; [unrolled: 2-line block ×3, first 2 shown]
	v_fmac_f32_e32 v73, s2, v71
	ds_store_2addr_b64 v5, v[74:75], v[44:45] offset0:1 offset1:2
	ds_store_2addr_b64 v5, v[46:47], v[48:49] offset0:3 offset1:4
	;; [unrolled: 1-line block ×4, first 2 shown]
.LBB18_33:                              ;   in Loop: Header=BB18_28 Depth=2
	s_and_not1_b32 vcc_lo, exec_lo, s31
	s_wait_alu 0xfffe
	s_cbranch_vccnz .LBB18_35
; %bb.34:                               ;   in Loop: Header=BB18_28 Depth=2
	v_dual_mov_b32 v26, v8 :: v_dual_mov_b32 v1, v8
	v_mov_b32_e32 v24, v8
	v_mov_b32_e32 v22, v8
	;; [unrolled: 1-line block ×3, first 2 shown]
	s_delay_alu instid0(VALU_DEP_4)
	v_lshlrev_b64_e32 v[25:26], 3, v[25:26]
	v_lshlrev_b64_e32 v[44:45], 3, v[7:8]
	;; [unrolled: 1-line block ×5, first 2 shown]
	v_mov_b32_e32 v18, v8
	v_add_co_u32 v25, vcc_lo, s12, v25
	s_wait_alu 0xfffd
	v_add_co_ci_u32_e64 v26, null, s13, v26, vcc_lo
	v_add_co_u32 v23, vcc_lo, s12, v23
	s_wait_alu 0xfffd
	v_add_co_ci_u32_e64 v24, null, s13, v24, vcc_lo
	;; [unrolled: 3-line block ×3, first 2 shown]
	v_add_co_u32 v21, vcc_lo, s12, v21
	v_mov_b32_e32 v16, v8
	v_lshlrev_b64_e32 v[17:18], 3, v[17:18]
	s_wait_alu 0xfffd
	v_add_co_ci_u32_e64 v22, null, s13, v22, vcc_lo
	v_add_co_u32 v19, vcc_lo, s12, v19
	v_lshlrev_b64_e32 v[0:1], 3, v[0:1]
	s_wait_alu 0xfffd
	v_add_co_ci_u32_e64 v20, null, s13, v20, vcc_lo
	s_clause 0x4
	global_load_b64 v[25:26], v[25:26], off
	global_load_b64 v[48:49], v[23:24], off
	;; [unrolled: 1-line block ×5, first 2 shown]
	v_lshlrev_b64_e32 v[19:20], 3, v[15:16]
	v_add_co_u32 v17, vcc_lo, s12, v17
	s_wait_alu 0xfffd
	v_add_co_ci_u32_e64 v18, null, s13, v18, vcc_lo
	v_add_co_u32 v0, vcc_lo, s12, v0
	s_wait_alu 0xfffd
	v_add_co_ci_u32_e64 v1, null, s13, v1, vcc_lo
	;; [unrolled: 3-line block ×3, first 2 shown]
	s_clause 0x2
	global_load_b64 v[56:57], v[17:18], off
	global_load_b64 v[0:1], v[0:1], off
	;; [unrolled: 1-line block ×3, first 2 shown]
	ds_load_2addr_b64 v[16:19], v5 offset0:2 offset1:3
	ds_load_2addr_b64 v[20:23], v5 offset0:4 offset1:5
	;; [unrolled: 1-line block ×3, first 2 shown]
	ds_load_b64 v[60:61], v5 offset:64
	s_wait_loadcnt 0x7
	v_fmac_f32_e32 v3, s23, v25
	v_fma_f32 v2, s2, v25, v2
	s_wait_loadcnt_dscnt 0x503
	v_fmac_f32_e32 v19, s23, v50
	v_fma_f32 v7, s2, v48, v16
	s_wait_loadcnt_dscnt 0x302
	v_fmac_f32_e32 v23, s23, v54
	v_fma_f32 v17, s23, v48, v17
	v_fma_f32 v18, s2, v50, v18
	;; [unrolled: 1-line block ×3, first 2 shown]
	v_fmac_f32_e32 v3, s2, v26
	v_fma_f32 v20, s2, v52, v20
	v_fma_f32 v21, s23, v52, v21
	v_fmac_f32_e32 v19, s2, v51
	v_fmac_f32_e32 v23, s2, v55
	v_fma_f32 v16, -s23, v49, v7
	v_fmac_f32_e32 v17, s2, v49
	v_fma_f32 v20, -s23, v53, v20
	v_fmac_f32_e32 v21, s2, v53
	s_wait_loadcnt_dscnt 0x201
	v_fma_f32 v24, s2, v56, v44
	s_wait_loadcnt 0x1
	v_fmac_f32_e32 v47, s23, v0
	v_fma_f32 v44, s2, v0, v46
	v_fma_f32 v25, s23, v56, v45
	s_wait_loadcnt_dscnt 0x0
	v_fma_f32 v45, s2, v58, v60
	v_fmac_f32_e32 v61, s23, v58
	v_fmac_f32_e32 v47, s2, v1
	v_fma_f32 v0, -s23, v26, v2
	v_fma_f32 v2, -s23, v51, v18
	;; [unrolled: 1-line block ×4, first 2 shown]
	v_mov_b32_e32 v1, v3
	v_mov_b32_e32 v3, v19
	v_fma_f32 v24, -s23, v57, v24
	v_fmac_f32_e32 v25, s2, v57
	v_mov_b32_e32 v19, v23
	v_fma_f32 v60, -s23, v59, v45
	v_fmac_f32_e32 v61, s2, v59
	v_mov_b32_e32 v23, v47
	ds_store_2addr_b64 v5, v[0:1], v[16:17] offset0:1 offset1:2
	ds_store_2addr_b64 v5, v[2:3], v[20:21] offset0:3 offset1:4
	;; [unrolled: 1-line block ×4, first 2 shown]
.LBB18_35:                              ;   in Loop: Header=BB18_28 Depth=2
	s_or_b32 exec_lo, exec_lo, s30
	s_mov_b32 s30, -1
	s_and_saveexec_b32 s31, s0
	s_cbranch_execz .LBB18_27
; %bb.36:                               ;   in Loop: Header=BB18_28 Depth=2
	v_add_nc_u32_e32 v6, 32, v6
	v_add_nc_u32_e32 v15, 0x120, v15
	s_delay_alu instid0(VALU_DEP_2)
	v_cmp_ge_i32_e32 vcc_lo, v6, v30
	s_or_not1_b32 s30, vcc_lo, exec_lo
	s_branch .LBB18_27
.LBB18_37:                              ;   in Loop: Header=BB18_12 Depth=1
	s_or_b32 exec_lo, exec_lo, s29
.LBB18_38:                              ;   in Loop: Header=BB18_12 Depth=1
	s_wait_alu 0xfffe
	s_or_b32 exec_lo, exec_lo, s28
	s_wait_loadcnt_dscnt 0x0
	global_inv scope:SCOPE_SE
	ds_load_u8 v0, v40
	s_mov_b32 s28, exec_lo
	s_wait_dscnt 0x0
	v_and_b32_e32 v1, 1, v0
	v_cmp_ne_u16_e32 vcc_lo, 0, v0
	s_delay_alu instid0(VALU_DEP_2)
	v_cmpx_eq_u32_e32 1, v1
	s_cbranch_execz .LBB18_11
; %bb.39:                               ;   in Loop: Header=BB18_12 Depth=1
	s_wait_alu 0xfffd
	v_dual_mov_b32 v17, v8 :: v_dual_and_b32 v0, vcc_lo, v33
	v_add_nc_u32_e32 v5, v34, v43
	v_add_nc_u32_e32 v26, s21, v32
	;; [unrolled: 1-line block ×3, first 2 shown]
	s_delay_alu instid0(VALU_DEP_4) | instskip(SKIP_3) | instid1(VALU_DEP_4)
	v_bcnt_u32_b32 v0, v0, 0
	v_add_nc_u32_e32 v57, s26, v32
	v_dual_mov_b32 v44, v8 :: v_dual_add_nc_u32 v59, s27, v32
	v_mov_b32_e32 v46, v8
	v_add3_u32 v15, v31, v0, -1
	ds_load_2addr_b64 v[0:3], v32 offset1:4
	v_mov_b32_e32 v48, v8
	v_ashrrev_i32_e32 v16, 31, v15
	v_lshl_add_u32 v7, v15, 3, v15
	v_mov_b32_e32 v19, v8
	v_mov_b32_e32 v21, v8
	s_delay_alu instid0(VALU_DEP_4) | instskip(NEXT) | instid1(VALU_DEP_4)
	v_lshlrev_b64_e32 v[22:23], 2, v[15:16]
	v_add_nc_u32_e32 v16, 1, v7
	v_add_nc_u32_e32 v18, 2, v7
	v_lshlrev_b64_e32 v[24:25], 3, v[7:8]
	v_add_nc_u32_e32 v20, 3, v7
	v_add_nc_u32_e32 v15, 4, v7
	s_wait_kmcnt 0x0
	v_add_co_u32 v22, s0, s16, v22
	v_lshlrev_b64_e32 v[16:17], 3, v[16:17]
	s_wait_alu 0xf1ff
	v_add_co_ci_u32_e64 v23, null, s17, v23, s0
	v_lshlrev_b64_e32 v[18:19], 3, v[18:19]
	v_lshlrev_b64_e32 v[20:21], 3, v[20:21]
	v_add_co_u32 v24, s0, s18, v24
	s_wait_alu 0xf1ff
	v_add_co_ci_u32_e64 v25, null, s19, v25, s0
	global_store_b32 v[22:23], v5, off
	v_add_co_u32 v22, s0, s18, v16
	s_wait_alu 0xf1ff
	v_add_co_ci_u32_e64 v23, null, s19, v17, s0
	v_add_co_u32 v17, s0, s18, v18
	s_wait_alu 0xf1ff
	v_add_co_ci_u32_e64 v18, null, s19, v19, s0
	v_add_co_u32 v19, s0, s18, v20
	v_add_nc_u32_e32 v5, s6, v32
	s_wait_alu 0xf1ff
	v_add_co_ci_u32_e64 v20, null, s19, v21, s0
	v_dual_mov_b32 v16, v8 :: v_dual_add_nc_u32 v21, s20, v32
	ds_load_b64 v[49:50], v5
	ds_load_b64 v[51:52], v21
	;; [unrolled: 1-line block ×6, first 2 shown]
	ds_load_b64 v[61:62], v32 offset:64
	v_add_nc_u32_e32 v43, 5, v7
	v_add_nc_u32_e32 v45, 6, v7
	v_lshlrev_b64_e32 v[15:16], 3, v[15:16]
	v_add_nc_u32_e32 v47, 7, v7
	v_add_nc_u32_e32 v7, 8, v7
	v_lshlrev_b64_e32 v[43:44], 3, v[43:44]
	v_lshlrev_b64_e32 v[45:46], 3, v[45:46]
	v_add_co_u32 v15, s0, s18, v15
	v_lshlrev_b64_e32 v[47:48], 3, v[47:48]
	s_wait_alu 0xf1ff
	v_add_co_ci_u32_e64 v16, null, s19, v16, s0
	v_add_co_u32 v43, s0, s18, v43
	v_lshlrev_b64_e32 v[63:64], 3, v[7:8]
	s_wait_alu 0xf1ff
	v_add_co_ci_u32_e64 v44, null, s19, v44, s0
	v_add_co_u32 v45, s0, s18, v45
	s_wait_alu 0xf1ff
	v_add_co_ci_u32_e64 v46, null, s19, v46, s0
	v_add_co_u32 v47, s0, s18, v47
	;; [unrolled: 3-line block ×3, first 2 shown]
	s_wait_alu 0xf1ff
	v_add_co_ci_u32_e64 v64, null, s19, v64, s0
	s_wait_dscnt 0x7
	global_store_b64 v[24:25], v[0:1], off
	s_wait_dscnt 0x6
	global_store_b64 v[22:23], v[49:50], off
	;; [unrolled: 2-line block ×3, first 2 shown]
	s_wait_dscnt 0x4
	s_clause 0x1
	global_store_b64 v[19:20], v[53:54], off
	global_store_b64 v[15:16], v[2:3], off
	s_wait_dscnt 0x3
	global_store_b64 v[43:44], v[55:56], off
	s_wait_dscnt 0x2
	;; [unrolled: 2-line block ×4, first 2 shown]
	global_store_b64 v[63:64], v[61:62], off
	s_branch .LBB18_11
.LBB18_40:
	s_endpgm
.LBB18_41:
	s_load_b32 s7, s[2:3], 0x0
	v_cndmask_b32_e64 v1, 0, 1, s8
	s_and_not1_b32 vcc_lo, exec_lo, s8
	s_cbranch_vccnz .LBB18_2
.LBB18_42:
	s_load_b32 s3, s[2:3], 0x4
	s_delay_alu instid0(VALU_DEP_1)
	v_cmp_ne_u32_e32 vcc_lo, 1, v1
	s_mov_b32 s2, s22
	s_cbranch_vccnz .LBB18_3
.LBB18_43:
	s_load_b32 s2, s[22:23], 0x0
	v_cmp_ne_u32_e32 vcc_lo, 1, v1
	s_cbranch_vccz .LBB18_4
	s_branch .LBB18_5
	.section	.rodata,"a",@progbits
	.p2align	6, 0x0
	.amdhsa_kernel _ZN9rocsparseL39bsrgeam_wf_per_row_multipass_2_3_kernelILj256ELj3ELj32E21rocsparse_complex_numIfEEEv20rocsparse_direction_iiiNS_24const_host_device_scalarIT2_EEPKiS8_PKS5_S6_S8_S8_SA_S8_PiPS5_21rocsparse_index_base_SD_SD_b
		.amdhsa_group_segment_fixed_size 18688
		.amdhsa_private_segment_fixed_size 0
		.amdhsa_kernarg_size 120
		.amdhsa_user_sgpr_count 2
		.amdhsa_user_sgpr_dispatch_ptr 0
		.amdhsa_user_sgpr_queue_ptr 0
		.amdhsa_user_sgpr_kernarg_segment_ptr 1
		.amdhsa_user_sgpr_dispatch_id 0
		.amdhsa_user_sgpr_private_segment_size 0
		.amdhsa_wavefront_size32 1
		.amdhsa_uses_dynamic_stack 0
		.amdhsa_enable_private_segment 0
		.amdhsa_system_sgpr_workgroup_id_x 1
		.amdhsa_system_sgpr_workgroup_id_y 0
		.amdhsa_system_sgpr_workgroup_id_z 0
		.amdhsa_system_sgpr_workgroup_info 0
		.amdhsa_system_vgpr_workitem_id 0
		.amdhsa_next_free_vgpr 76
		.amdhsa_next_free_sgpr 32
		.amdhsa_reserve_vcc 1
		.amdhsa_float_round_mode_32 0
		.amdhsa_float_round_mode_16_64 0
		.amdhsa_float_denorm_mode_32 3
		.amdhsa_float_denorm_mode_16_64 3
		.amdhsa_fp16_overflow 0
		.amdhsa_workgroup_processor_mode 1
		.amdhsa_memory_ordered 1
		.amdhsa_forward_progress 1
		.amdhsa_inst_pref_size 39
		.amdhsa_round_robin_scheduling 0
		.amdhsa_exception_fp_ieee_invalid_op 0
		.amdhsa_exception_fp_denorm_src 0
		.amdhsa_exception_fp_ieee_div_zero 0
		.amdhsa_exception_fp_ieee_overflow 0
		.amdhsa_exception_fp_ieee_underflow 0
		.amdhsa_exception_fp_ieee_inexact 0
		.amdhsa_exception_int_div_zero 0
	.end_amdhsa_kernel
	.section	.text._ZN9rocsparseL39bsrgeam_wf_per_row_multipass_2_3_kernelILj256ELj3ELj32E21rocsparse_complex_numIfEEEv20rocsparse_direction_iiiNS_24const_host_device_scalarIT2_EEPKiS8_PKS5_S6_S8_S8_SA_S8_PiPS5_21rocsparse_index_base_SD_SD_b,"axG",@progbits,_ZN9rocsparseL39bsrgeam_wf_per_row_multipass_2_3_kernelILj256ELj3ELj32E21rocsparse_complex_numIfEEEv20rocsparse_direction_iiiNS_24const_host_device_scalarIT2_EEPKiS8_PKS5_S6_S8_S8_SA_S8_PiPS5_21rocsparse_index_base_SD_SD_b,comdat
.Lfunc_end18:
	.size	_ZN9rocsparseL39bsrgeam_wf_per_row_multipass_2_3_kernelILj256ELj3ELj32E21rocsparse_complex_numIfEEEv20rocsparse_direction_iiiNS_24const_host_device_scalarIT2_EEPKiS8_PKS5_S6_S8_S8_SA_S8_PiPS5_21rocsparse_index_base_SD_SD_b, .Lfunc_end18-_ZN9rocsparseL39bsrgeam_wf_per_row_multipass_2_3_kernelILj256ELj3ELj32E21rocsparse_complex_numIfEEEv20rocsparse_direction_iiiNS_24const_host_device_scalarIT2_EEPKiS8_PKS5_S6_S8_S8_SA_S8_PiPS5_21rocsparse_index_base_SD_SD_b
                                        ; -- End function
	.set _ZN9rocsparseL39bsrgeam_wf_per_row_multipass_2_3_kernelILj256ELj3ELj32E21rocsparse_complex_numIfEEEv20rocsparse_direction_iiiNS_24const_host_device_scalarIT2_EEPKiS8_PKS5_S6_S8_S8_SA_S8_PiPS5_21rocsparse_index_base_SD_SD_b.num_vgpr, 76
	.set _ZN9rocsparseL39bsrgeam_wf_per_row_multipass_2_3_kernelILj256ELj3ELj32E21rocsparse_complex_numIfEEEv20rocsparse_direction_iiiNS_24const_host_device_scalarIT2_EEPKiS8_PKS5_S6_S8_S8_SA_S8_PiPS5_21rocsparse_index_base_SD_SD_b.num_agpr, 0
	.set _ZN9rocsparseL39bsrgeam_wf_per_row_multipass_2_3_kernelILj256ELj3ELj32E21rocsparse_complex_numIfEEEv20rocsparse_direction_iiiNS_24const_host_device_scalarIT2_EEPKiS8_PKS5_S6_S8_S8_SA_S8_PiPS5_21rocsparse_index_base_SD_SD_b.numbered_sgpr, 32
	.set _ZN9rocsparseL39bsrgeam_wf_per_row_multipass_2_3_kernelILj256ELj3ELj32E21rocsparse_complex_numIfEEEv20rocsparse_direction_iiiNS_24const_host_device_scalarIT2_EEPKiS8_PKS5_S6_S8_S8_SA_S8_PiPS5_21rocsparse_index_base_SD_SD_b.num_named_barrier, 0
	.set _ZN9rocsparseL39bsrgeam_wf_per_row_multipass_2_3_kernelILj256ELj3ELj32E21rocsparse_complex_numIfEEEv20rocsparse_direction_iiiNS_24const_host_device_scalarIT2_EEPKiS8_PKS5_S6_S8_S8_SA_S8_PiPS5_21rocsparse_index_base_SD_SD_b.private_seg_size, 0
	.set _ZN9rocsparseL39bsrgeam_wf_per_row_multipass_2_3_kernelILj256ELj3ELj32E21rocsparse_complex_numIfEEEv20rocsparse_direction_iiiNS_24const_host_device_scalarIT2_EEPKiS8_PKS5_S6_S8_S8_SA_S8_PiPS5_21rocsparse_index_base_SD_SD_b.uses_vcc, 1
	.set _ZN9rocsparseL39bsrgeam_wf_per_row_multipass_2_3_kernelILj256ELj3ELj32E21rocsparse_complex_numIfEEEv20rocsparse_direction_iiiNS_24const_host_device_scalarIT2_EEPKiS8_PKS5_S6_S8_S8_SA_S8_PiPS5_21rocsparse_index_base_SD_SD_b.uses_flat_scratch, 0
	.set _ZN9rocsparseL39bsrgeam_wf_per_row_multipass_2_3_kernelILj256ELj3ELj32E21rocsparse_complex_numIfEEEv20rocsparse_direction_iiiNS_24const_host_device_scalarIT2_EEPKiS8_PKS5_S6_S8_S8_SA_S8_PiPS5_21rocsparse_index_base_SD_SD_b.has_dyn_sized_stack, 0
	.set _ZN9rocsparseL39bsrgeam_wf_per_row_multipass_2_3_kernelILj256ELj3ELj32E21rocsparse_complex_numIfEEEv20rocsparse_direction_iiiNS_24const_host_device_scalarIT2_EEPKiS8_PKS5_S6_S8_S8_SA_S8_PiPS5_21rocsparse_index_base_SD_SD_b.has_recursion, 0
	.set _ZN9rocsparseL39bsrgeam_wf_per_row_multipass_2_3_kernelILj256ELj3ELj32E21rocsparse_complex_numIfEEEv20rocsparse_direction_iiiNS_24const_host_device_scalarIT2_EEPKiS8_PKS5_S6_S8_S8_SA_S8_PiPS5_21rocsparse_index_base_SD_SD_b.has_indirect_call, 0
	.section	.AMDGPU.csdata,"",@progbits
; Kernel info:
; codeLenInByte = 4884
; TotalNumSgprs: 34
; NumVgprs: 76
; ScratchSize: 0
; MemoryBound: 0
; FloatMode: 240
; IeeeMode: 1
; LDSByteSize: 18688 bytes/workgroup (compile time only)
; SGPRBlocks: 0
; VGPRBlocks: 9
; NumSGPRsForWavesPerEU: 34
; NumVGPRsForWavesPerEU: 76
; Occupancy: 14
; WaveLimiterHint : 1
; COMPUTE_PGM_RSRC2:SCRATCH_EN: 0
; COMPUTE_PGM_RSRC2:USER_SGPR: 2
; COMPUTE_PGM_RSRC2:TRAP_HANDLER: 0
; COMPUTE_PGM_RSRC2:TGID_X_EN: 1
; COMPUTE_PGM_RSRC2:TGID_Y_EN: 0
; COMPUTE_PGM_RSRC2:TGID_Z_EN: 0
; COMPUTE_PGM_RSRC2:TIDIG_COMP_CNT: 0
	.section	.text._ZN9rocsparseL39bsrgeam_wf_per_row_multipass_2_3_kernelILj256ELj3ELj64E21rocsparse_complex_numIfEEEv20rocsparse_direction_iiiNS_24const_host_device_scalarIT2_EEPKiS8_PKS5_S6_S8_S8_SA_S8_PiPS5_21rocsparse_index_base_SD_SD_b,"axG",@progbits,_ZN9rocsparseL39bsrgeam_wf_per_row_multipass_2_3_kernelILj256ELj3ELj64E21rocsparse_complex_numIfEEEv20rocsparse_direction_iiiNS_24const_host_device_scalarIT2_EEPKiS8_PKS5_S6_S8_S8_SA_S8_PiPS5_21rocsparse_index_base_SD_SD_b,comdat
	.globl	_ZN9rocsparseL39bsrgeam_wf_per_row_multipass_2_3_kernelILj256ELj3ELj64E21rocsparse_complex_numIfEEEv20rocsparse_direction_iiiNS_24const_host_device_scalarIT2_EEPKiS8_PKS5_S6_S8_S8_SA_S8_PiPS5_21rocsparse_index_base_SD_SD_b ; -- Begin function _ZN9rocsparseL39bsrgeam_wf_per_row_multipass_2_3_kernelILj256ELj3ELj64E21rocsparse_complex_numIfEEEv20rocsparse_direction_iiiNS_24const_host_device_scalarIT2_EEPKiS8_PKS5_S6_S8_S8_SA_S8_PiPS5_21rocsparse_index_base_SD_SD_b
	.p2align	8
	.type	_ZN9rocsparseL39bsrgeam_wf_per_row_multipass_2_3_kernelILj256ELj3ELj64E21rocsparse_complex_numIfEEEv20rocsparse_direction_iiiNS_24const_host_device_scalarIT2_EEPKiS8_PKS5_S6_S8_S8_SA_S8_PiPS5_21rocsparse_index_base_SD_SD_b,@function
_ZN9rocsparseL39bsrgeam_wf_per_row_multipass_2_3_kernelILj256ELj3ELj64E21rocsparse_complex_numIfEEEv20rocsparse_direction_iiiNS_24const_host_device_scalarIT2_EEPKiS8_PKS5_S6_S8_S8_SA_S8_PiPS5_21rocsparse_index_base_SD_SD_b: ; @_ZN9rocsparseL39bsrgeam_wf_per_row_multipass_2_3_kernelILj256ELj3ELj64E21rocsparse_complex_numIfEEEv20rocsparse_direction_iiiNS_24const_host_device_scalarIT2_EEPKiS8_PKS5_S6_S8_S8_SA_S8_PiPS5_21rocsparse_index_base_SD_SD_b
; %bb.0:
	s_clause 0x2
	s_load_b128 s[4:7], s[0:1], 0x68
	s_load_b64 s[2:3], s[0:1], 0x10
	s_load_b64 s[22:23], s[0:1], 0x30
	s_wait_kmcnt 0x0
	s_bitcmp1_b32 s7, 0
	s_cselect_b32 s7, -1, 0
	s_delay_alu instid0(SALU_CYCLE_1)
	s_xor_b32 s8, s7, -1
	s_and_b32 vcc_lo, exec_lo, s7
	s_mov_b32 s7, s2
	s_cbranch_vccz .LBB19_41
; %bb.1:
	v_cndmask_b32_e64 v1, 0, 1, s8
	s_and_not1_b32 vcc_lo, exec_lo, s8
	s_cbranch_vccz .LBB19_42
.LBB19_2:
	s_delay_alu instid0(VALU_DEP_1)
	v_cmp_ne_u32_e32 vcc_lo, 1, v1
	s_mov_b32 s2, s22
	s_cbranch_vccz .LBB19_43
.LBB19_3:
	v_cmp_ne_u32_e32 vcc_lo, 1, v1
	s_cbranch_vccnz .LBB19_5
.LBB19_4:
	s_load_b32 s23, s[22:23], 0x4
.LBB19_5:
	s_load_b96 s[20:22], s[0:1], 0x0
	v_lshrrev_b32_e32 v8, 6, v0
	s_lshl_b32 s8, ttmp9, 2
	s_wait_alu 0xfffe
	s_delay_alu instid0(VALU_DEP_1) | instskip(SKIP_2) | instid1(VALU_DEP_1)
	v_and_or_b32 v1, 0x3fffffc, s8, v8
	s_mov_b32 s8, exec_lo
	s_wait_kmcnt 0x0
	v_cmpx_gt_i32_e64 s21, v1
	s_cbranch_execz .LBB19_40
; %bb.6:
	s_clause 0x2
	s_load_b128 s[8:11], s[0:1], 0x18
	s_load_b128 s[12:15], s[0:1], 0x38
	s_load_b64 s[16:17], s[0:1], 0x50
	v_lshlrev_b32_e32 v1, 2, v1
	s_wait_kmcnt 0x0
	s_clause 0x2
	global_load_b64 v[2:3], v1, s[8:9]
	global_load_b64 v[4:5], v1, s[12:13]
	global_load_b32 v9, v1, s[16:17]
	s_wait_loadcnt 0x2
	v_subrev_nc_u32_e32 v1, s4, v2
	v_cmp_lt_i32_e32 vcc_lo, v2, v3
	v_mov_b32_e32 v2, s22
	s_and_saveexec_b32 s8, vcc_lo
	s_cbranch_execz .LBB19_8
; %bb.7:
	v_ashrrev_i32_e32 v2, 31, v1
	s_delay_alu instid0(VALU_DEP_1) | instskip(NEXT) | instid1(VALU_DEP_1)
	v_lshlrev_b64_e32 v[6:7], 2, v[1:2]
	v_add_co_u32 v6, vcc_lo, s10, v6
	s_delay_alu instid0(VALU_DEP_1)
	v_add_co_ci_u32_e64 v7, null, s11, v7, vcc_lo
	global_load_b32 v2, v[6:7], off
	s_wait_loadcnt 0x0
	v_subrev_nc_u32_e32 v2, s4, v2
.LBB19_8:
	s_wait_alu 0xfffe
	s_or_b32 exec_lo, exec_lo, s8
	s_clause 0x2
	s_load_b128 s[16:19], s[0:1], 0x58
	s_load_b64 s[8:9], s[0:1], 0x28
	s_load_b64 s[12:13], s[0:1], 0x48
	s_wait_loadcnt 0x1
	v_subrev_nc_u32_e32 v6, s5, v4
	v_cmp_lt_i32_e32 vcc_lo, v4, v5
	v_mov_b32_e32 v4, s22
	s_and_saveexec_b32 s0, vcc_lo
	s_cbranch_execz .LBB19_10
; %bb.9:
	v_ashrrev_i32_e32 v7, 31, v6
	s_delay_alu instid0(VALU_DEP_1) | instskip(NEXT) | instid1(VALU_DEP_1)
	v_lshlrev_b64_e32 v[10:11], 2, v[6:7]
	v_add_co_u32 v10, vcc_lo, s14, v10
	s_wait_alu 0xfffd
	s_delay_alu instid0(VALU_DEP_2)
	v_add_co_ci_u32_e64 v11, null, s15, v11, vcc_lo
	global_load_b32 v4, v[10:11], off
	s_wait_loadcnt 0x0
	v_subrev_nc_u32_e32 v4, s5, v4
.LBB19_10:
	s_or_b32 exec_lo, exec_lo, s0
	v_subrev_nc_u32_e32 v31, s4, v3
	v_mbcnt_lo_u32_b32 v3, -1, 0
	v_and_b32_e32 v7, 63, v0
	s_movk_i32 s0, 0xc0
	v_min_i32_e32 v45, v4, v2
	v_and_or_b32 v29, v0, s0, 0x4800
	v_xor_b32_e32 v2, 16, v3
	v_mul_u32_u24_e32 v0, 0x48, v7
	v_mul_u32_u24_e32 v30, 0x1200, v8
	s_wait_loadcnt 0x0
	v_subrev_nc_u32_e32 v33, s6, v9
	v_subrev_nc_u32_e32 v32, s5, v5
	v_xor_b32_e32 v5, 2, v3
	v_mad_u32_u24 v34, 0x1200, v8, v0
	v_or_b32_e32 v0, 32, v3
	s_mov_b32 s24, 0
	s_cmp_lg_u32 s20, 0
	s_mov_b32 s26, s24
	s_mov_b32 s25, s24
	v_cmp_gt_i32_e32 vcc_lo, 32, v0
	s_mov_b32 s27, s24
	s_cselect_b32 s1, -1, 0
	s_cmp_eq_u32 s20, 0
	s_wait_alu 0xfffd
	v_dual_mov_b32 v11, s24 :: v_dual_cndmask_b32 v0, v3, v0
	v_cmp_gt_i32_e32 vcc_lo, 32, v2
	v_add_nc_u32_e32 v4, v1, v7
	v_xor_b32_e32 v1, 63, v7
	s_cselect_b32 s20, 16, 48
	s_cselect_b32 s21, 24, 8
	v_dual_mov_b32 v10, 0 :: v_dual_mov_b32 v13, s26
	s_delay_alu instid0(VALU_DEP_2)
	v_lshrrev_b64 v[8:9], v1, -1
	v_xor_b32_e32 v9, 1, v3
	v_lshlrev_b32_e32 v36, 2, v0
	v_xor_b32_e32 v0, 8, v3
	s_wait_alu 0xfffd
	v_cndmask_b32_e32 v1, v3, v2, vcc_lo
	v_xor_b32_e32 v2, 4, v3
	v_dual_mov_b32 v15, v10 :: v_dual_mov_b32 v16, v10
	v_cmp_gt_i32_e32 vcc_lo, 32, v0
	s_delay_alu instid0(VALU_DEP_4)
	v_dual_mov_b32 v14, s27 :: v_dual_lshlrev_b32 v37, 2, v1
	v_mov_b32_e32 v43, 1
	s_cselect_b32 s26, 48, 16
	s_wait_alu 0xfffd
	v_cndmask_b32_e32 v0, v3, v0, vcc_lo
	v_cmp_gt_i32_e32 vcc_lo, 32, v2
	s_cselect_b32 s27, 56, 40
	v_mov_b32_e32 v12, s25
	s_cselect_b32 s25, 40, 56
	v_lshlrev_b32_e32 v38, 2, v0
	s_wait_alu 0xfffd
	v_cndmask_b32_e32 v2, v3, v2, vcc_lo
	v_cmp_gt_i32_e32 vcc_lo, 32, v5
	v_add_nc_u32_e32 v6, v6, v7
	v_add_nc_u32_e32 v35, s6, v7
	;; [unrolled: 1-line block ×3, first 2 shown]
	v_lshlrev_b32_e32 v39, 2, v2
	s_wait_alu 0xfffd
	v_cndmask_b32_e32 v5, v3, v5, vcc_lo
	v_cmp_gt_i32_e32 vcc_lo, 32, v9
	s_cselect_b32 s6, 8, 24
	s_delay_alu instid0(VALU_DEP_2) | instskip(SKIP_2) | instid1(VALU_DEP_1)
	v_lshlrev_b32_e32 v40, 2, v5
	s_wait_alu 0xfffd
	v_cndmask_b32_e32 v3, v3, v9, vcc_lo
	v_lshlrev_b32_e32 v41, 2, v3
	s_branch .LBB19_12
.LBB19_11:                              ;   in Loop: Header=BB19_12 Depth=1
	s_wait_alu 0xfffe
	s_or_b32 exec_lo, exec_lo, s28
	ds_bpermute_b32 v0, v36, v44
	s_bcnt1_i32_b32 s28, vcc_lo
	s_wait_alu 0xfffe
	v_add_nc_u32_e32 v33, s28, v33
	s_wait_dscnt 0x0
	v_min_i32_e32 v0, v0, v44
	ds_bpermute_b32 v1, v37, v0
	s_wait_dscnt 0x0
	v_min_i32_e32 v0, v1, v0
	ds_bpermute_b32 v1, v38, v0
	;; [unrolled: 3-line block ×5, first 2 shown]
	s_wait_dscnt 0x0
	v_min_i32_e32 v45, v1, v0
	s_delay_alu instid0(VALU_DEP_1)
	v_cmp_le_i32_e64 s0, s22, v45
	s_or_b32 s24, s0, s24
	s_wait_alu 0xfffe
	s_and_not1_b32 exec_lo, exec_lo, s24
	s_cbranch_execz .LBB19_40
.LBB19_12:                              ; =>This Loop Header: Depth=1
                                        ;     Child Loop BB19_15 Depth 2
                                        ;     Child Loop BB19_28 Depth 2
	v_mov_b32_e32 v44, s22
	s_mov_b32 s28, exec_lo
	ds_store_2addr_b64 v34, v[11:12], v[13:14] offset1:1
	ds_store_2addr_b64 v34, v[11:12], v[13:14] offset0:2 offset1:3
	ds_store_2addr_b64 v34, v[11:12], v[13:14] offset0:4 offset1:5
	;; [unrolled: 1-line block ×3, first 2 shown]
	ds_store_b8 v42, v10
	ds_store_b64 v34, v[15:16] offset:64
	s_wait_dscnt 0x0
	global_inv scope:SCOPE_SE
	v_cmpx_lt_i32_e64 v4, v31
	s_cbranch_execz .LBB19_25
; %bb.13:                               ;   in Loop: Header=BB19_12 Depth=1
	v_mad_co_u64_u32 v[0:1], null, v4, 9, 8
	v_mov_b32_e32 v44, s22
	s_mov_b32 s29, 0
	s_branch .LBB19_15
.LBB19_14:                              ;   in Loop: Header=BB19_15 Depth=2
	s_or_b32 exec_lo, exec_lo, s31
	s_delay_alu instid0(SALU_CYCLE_1)
	s_and_b32 s0, exec_lo, s30
	s_wait_alu 0xfffe
	s_or_b32 s29, s0, s29
	s_wait_alu 0xfffe
	s_and_not1_b32 exec_lo, exec_lo, s29
	s_cbranch_execz .LBB19_24
.LBB19_15:                              ;   Parent Loop BB19_12 Depth=1
                                        ; =>  This Inner Loop Header: Depth=2
	v_ashrrev_i32_e32 v5, 31, v4
	s_mov_b32 s30, exec_lo
	s_delay_alu instid0(VALU_DEP_1) | instskip(NEXT) | instid1(VALU_DEP_1)
	v_lshlrev_b64_e32 v[1:2], 2, v[4:5]
	v_add_co_u32 v1, vcc_lo, s10, v1
	s_wait_alu 0xfffd
	s_delay_alu instid0(VALU_DEP_2) | instskip(SKIP_3) | instid1(VALU_DEP_1)
	v_add_co_ci_u32_e64 v2, null, s11, v2, vcc_lo
	global_load_b32 v1, v[1:2], off
	s_wait_loadcnt 0x0
	v_subrev_nc_u32_e32 v2, s4, v1
	v_sub_nc_u32_e32 v1, v2, v45
	s_delay_alu instid0(VALU_DEP_1)
	v_cmp_gt_u32_e64 s0, 64, v1
	v_cmpx_lt_u32_e32 63, v1
	s_xor_b32 s30, exec_lo, s30
; %bb.16:                               ;   in Loop: Header=BB19_15 Depth=2
	v_min_i32_e32 v44, v2, v44
                                        ; implicit-def: $vgpr1
; %bb.17:                               ;   in Loop: Header=BB19_15 Depth=2
	s_and_not1_saveexec_b32 s30, s30
	s_cbranch_execz .LBB19_22
; %bb.18:                               ;   in Loop: Header=BB19_15 Depth=2
	v_add_nc_u32_e32 v9, -8, v0
	v_add_nc_u32_e32 v17, -2, v0
	v_add_nc_u32_e32 v25, -7, v0
	v_add_nc_u32_e32 v21, -4, v0
	v_add_nc_u32_e32 v23, -6, v0
	v_lshlrev_b64_e32 v[2:3], 3, v[9:10]
	v_add_nc_u32_e32 v9, -5, v0
	s_mov_b32 s31, -1
	s_wait_kmcnt 0x0
	s_delay_alu instid0(VALU_DEP_2)
	v_add_co_u32 v2, vcc_lo, s8, v2
	s_wait_alu 0xfffd
	v_add_co_ci_u32_e64 v3, null, s9, v3, vcc_lo
	s_wait_alu 0xfffe
	s_and_not1_b32 vcc_lo, exec_lo, s1
	global_load_b64 v[18:19], v[2:3], off
	v_add_nc_u32_e32 v3, v29, v1
	v_mul_lo_u32 v1, 0x48, v1
	v_add_nc_u32_e32 v2, -1, v0
	s_delay_alu instid0(VALU_DEP_2) | instskip(SKIP_3) | instid1(VALU_DEP_2)
	v_add_nc_u32_e32 v5, v30, v1
	s_wait_loadcnt 0x0
	v_mul_f32_e64 v26, v19, -s3
	v_mul_f32_e32 v27, s7, v19
	v_dual_fmac_f32 v26, s7, v18 :: v_dual_add_nc_u32 v19, -3, v0
	s_delay_alu instid0(VALU_DEP_2)
	v_fmac_f32_e32 v27, s3, v18
	ds_store_b8 v3, v43
	ds_store_b64 v5, v[26:27]
	s_wait_alu 0xfffe
	s_cbranch_vccnz .LBB19_20
; %bb.19:                               ;   in Loop: Header=BB19_15 Depth=2
	v_dual_mov_b32 v18, v10 :: v_dual_mov_b32 v3, v10
	v_dual_mov_b32 v26, v10 :: v_dual_mov_b32 v1, v10
	v_lshlrev_b64_e32 v[27:28], 3, v[9:10]
	v_mov_b32_e32 v22, v10
	s_delay_alu instid0(VALU_DEP_4) | instskip(NEXT) | instid1(VALU_DEP_4)
	v_lshlrev_b64_e32 v[46:47], 3, v[17:18]
	v_lshlrev_b64_e32 v[48:49], 3, v[25:26]
	;; [unrolled: 1-line block ×4, first 2 shown]
	v_add_co_u32 v26, vcc_lo, s8, v27
	v_lshlrev_b64_e32 v[50:51], 3, v[21:22]
	s_wait_alu 0xfffd
	v_add_co_ci_u32_e64 v27, null, s9, v28, vcc_lo
	v_add_co_u32 v46, vcc_lo, s8, v46
	s_wait_alu 0xfffd
	v_add_co_ci_u32_e64 v47, null, s9, v47, vcc_lo
	v_add_co_u32 v48, vcc_lo, s8, v48
	;; [unrolled: 3-line block ×4, first 2 shown]
	s_wait_alu 0xfffd
	v_add_co_ci_u32_e64 v53, null, s9, v53, vcc_lo
	s_clause 0x4
	global_load_b64 v[26:27], v[26:27], off
	global_load_b64 v[46:47], v[46:47], off
	;; [unrolled: 1-line block ×5, first 2 shown]
	v_mov_b32_e32 v20, v10
	s_mov_b32 s31, 0
	s_wait_loadcnt 0x4
	v_dual_mul_f32 v61, s7, v27 :: v_dual_mov_b32 v24, v10
	v_mul_f32_e64 v60, v27, -s3
	s_wait_loadcnt 0x3
	v_mul_f32_e32 v27, s7, v47
	v_lshlrev_b64_e32 v[56:57], 3, v[19:20]
	v_fmac_f32_e32 v61, s3, v26
	v_lshlrev_b64_e32 v[54:55], 3, v[23:24]
	s_wait_loadcnt 0x2
	v_dual_fmac_f32 v60, s7, v26 :: v_dual_mul_f32 v63, s7, v49
	v_mul_f32_e64 v26, v47, -s3
	v_mul_f32_e64 v62, v49, -s3
	s_wait_loadcnt 0x1
	v_mul_f32_e64 v64, v51, -s3
	v_add_co_u32 v54, vcc_lo, s8, v54
	s_wait_alu 0xfffd
	v_add_co_ci_u32_e64 v55, null, s9, v55, vcc_lo
	v_add_co_u32 v56, vcc_lo, s8, v56
	s_wait_alu 0xfffd
	v_add_co_ci_u32_e64 v57, null, s9, v57, vcc_lo
	v_add_co_u32 v58, vcc_lo, s8, v58
	s_wait_alu 0xfffd
	v_add_co_ci_u32_e64 v59, null, s9, v59, vcc_lo
	s_clause 0x2
	global_load_b64 v[54:55], v[54:55], off
	global_load_b64 v[56:57], v[56:57], off
	;; [unrolled: 1-line block ×3, first 2 shown]
	v_dual_mul_f32 v65, s7, v51 :: v_dual_fmac_f32 v26, s7, v46
	s_wait_loadcnt 0x3
	v_mul_f32_e64 v66, v53, -s3
	v_dual_mul_f32 v67, s7, v53 :: v_dual_fmac_f32 v62, s7, v48
	s_delay_alu instid0(VALU_DEP_3) | instskip(SKIP_1) | instid1(VALU_DEP_4)
	v_fmac_f32_e32 v65, s3, v50
	v_fmac_f32_e32 v64, s7, v50
	;; [unrolled: 1-line block ×3, first 2 shown]
	s_delay_alu instid0(VALU_DEP_4)
	v_fmac_f32_e32 v67, s3, v52
	s_wait_loadcnt 0x2
	v_mul_f32_e64 v68, v55, -s3
	v_mul_f32_e32 v69, s7, v55
	s_wait_loadcnt 0x1
	v_mul_f32_e64 v70, v57, -s3
	v_mul_f32_e32 v71, s7, v57
	s_wait_loadcnt 0x0
	v_mul_f32_e64 v72, v59, -s3
	v_dual_mul_f32 v73, s7, v59 :: v_dual_fmac_f32 v68, s7, v54
	v_dual_fmac_f32 v27, s3, v46 :: v_dual_fmac_f32 v70, s7, v56
	s_delay_alu instid0(VALU_DEP_3)
	v_dual_fmac_f32 v63, s3, v48 :: v_dual_fmac_f32 v72, s7, v58
	v_fmac_f32_e32 v69, s3, v54
	v_fmac_f32_e32 v71, s3, v56
	;; [unrolled: 1-line block ×3, first 2 shown]
	ds_store_2addr_b64 v5, v[60:61], v[26:27] offset0:1 offset1:2
	ds_store_2addr_b64 v5, v[62:63], v[64:65] offset0:3 offset1:4
	;; [unrolled: 1-line block ×4, first 2 shown]
.LBB19_20:                              ;   in Loop: Header=BB19_15 Depth=2
	s_and_not1_b32 vcc_lo, exec_lo, s31
	s_wait_alu 0xfffe
	s_cbranch_vccnz .LBB19_22
; %bb.21:                               ;   in Loop: Header=BB19_15 Depth=2
	v_dual_mov_b32 v26, v10 :: v_dual_mov_b32 v3, v10
	v_dual_mov_b32 v24, v10 :: v_dual_mov_b32 v1, v10
	v_mov_b32_e32 v22, v10
	s_delay_alu instid0(VALU_DEP_3) | instskip(SKIP_1) | instid1(VALU_DEP_4)
	v_lshlrev_b64_e32 v[25:26], 3, v[25:26]
	v_mov_b32_e32 v20, v10
	v_lshlrev_b64_e32 v[23:24], 3, v[23:24]
	v_lshlrev_b64_e32 v[27:28], 3, v[9:10]
	;; [unrolled: 1-line block ×4, first 2 shown]
	v_add_co_u32 v25, vcc_lo, s8, v25
	s_wait_alu 0xfffd
	v_add_co_ci_u32_e64 v26, null, s9, v26, vcc_lo
	v_add_co_u32 v23, vcc_lo, s8, v23
	v_lshlrev_b64_e32 v[19:20], 3, v[19:20]
	s_wait_alu 0xfffd
	v_add_co_ci_u32_e64 v24, null, s9, v24, vcc_lo
	v_add_co_u32 v27, vcc_lo, s8, v27
	s_wait_alu 0xfffd
	v_add_co_ci_u32_e64 v28, null, s9, v28, vcc_lo
	v_add_co_u32 v21, vcc_lo, s8, v21
	;; [unrolled: 3-line block ×3, first 2 shown]
	s_wait_alu 0xfffd
	v_add_co_ci_u32_e64 v20, null, s9, v20, vcc_lo
	s_clause 0x4
	global_load_b64 v[25:26], v[25:26], off
	global_load_b64 v[23:24], v[23:24], off
	;; [unrolled: 1-line block ×5, first 2 shown]
	v_mov_b32_e32 v18, v10
	v_lshlrev_b64_e32 v[46:47], 3, v[0:1]
	s_wait_loadcnt 0x4
	v_mul_f32_e64 v48, v26, -s3
	v_mul_f32_e32 v49, s7, v26
	s_wait_loadcnt 0x2
	v_mul_f32_e32 v53, s7, v28
	v_lshlrev_b64_e32 v[17:18], 3, v[17:18]
	v_mul_f32_e64 v50, v24, -s3
	v_mul_f32_e32 v51, s7, v24
	v_mul_f32_e64 v52, v28, -s3
	s_wait_loadcnt 0x1
	v_mul_f32_e64 v54, v22, -s3
	v_dual_mul_f32 v55, s7, v22 :: v_dual_fmac_f32 v48, s7, v25
	v_add_co_u32 v17, vcc_lo, s8, v17
	s_wait_alu 0xfffd
	v_add_co_ci_u32_e64 v18, null, s9, v18, vcc_lo
	v_add_co_u32 v1, vcc_lo, s8, v2
	s_wait_alu 0xfffd
	v_add_co_ci_u32_e64 v2, null, s9, v3, vcc_lo
	;; [unrolled: 3-line block ×3, first 2 shown]
	s_clause 0x2
	global_load_b64 v[17:18], v[17:18], off
	global_load_b64 v[1:2], v[1:2], off
	global_load_b64 v[46:47], v[46:47], off
	s_wait_loadcnt 0x3
	v_mul_f32_e64 v56, v20, -s3
	v_dual_mul_f32 v57, s7, v20 :: v_dual_fmac_f32 v50, s7, v23
	v_fmac_f32_e32 v49, s3, v25
	s_delay_alu instid0(VALU_DEP_3) | instskip(NEXT) | instid1(VALU_DEP_3)
	v_dual_fmac_f32 v55, s3, v21 :: v_dual_fmac_f32 v56, s7, v19
	v_fmac_f32_e32 v57, s3, v19
	v_fmac_f32_e32 v52, s7, v27
	;; [unrolled: 1-line block ×3, first 2 shown]
	s_wait_loadcnt 0x2
	v_mul_f32_e64 v58, v18, -s3
	v_mul_f32_e32 v59, s7, v18
	s_wait_loadcnt 0x1
	v_mul_f32_e64 v60, v2, -s3
	v_mul_f32_e32 v61, s7, v2
	s_wait_loadcnt 0x0
	v_mul_f32_e64 v2, v47, -s3
	v_dual_mul_f32 v3, s7, v47 :: v_dual_fmac_f32 v58, s7, v17
	v_dual_fmac_f32 v51, s3, v23 :: v_dual_fmac_f32 v60, s7, v1
	s_delay_alu instid0(VALU_DEP_3)
	v_dual_fmac_f32 v53, s3, v27 :: v_dual_fmac_f32 v2, s7, v46
	v_fmac_f32_e32 v59, s3, v17
	v_fmac_f32_e32 v61, s3, v1
	;; [unrolled: 1-line block ×3, first 2 shown]
	ds_store_2addr_b64 v5, v[48:49], v[50:51] offset0:1 offset1:2
	ds_store_2addr_b64 v5, v[52:53], v[54:55] offset0:3 offset1:4
	ds_store_2addr_b64 v5, v[56:57], v[58:59] offset0:5 offset1:6
	ds_store_2addr_b64 v5, v[60:61], v[2:3] offset0:7 offset1:8
.LBB19_22:                              ;   in Loop: Header=BB19_15 Depth=2
	s_or_b32 exec_lo, exec_lo, s30
	s_mov_b32 s30, -1
	s_and_saveexec_b32 s31, s0
	s_cbranch_execz .LBB19_14
; %bb.23:                               ;   in Loop: Header=BB19_15 Depth=2
	v_add_nc_u32_e32 v4, 64, v4
	v_add_nc_u32_e32 v0, 0x240, v0
	s_delay_alu instid0(VALU_DEP_2)
	v_cmp_ge_i32_e32 vcc_lo, v4, v31
	s_or_not1_b32 s30, vcc_lo, exec_lo
	s_branch .LBB19_14
.LBB19_24:                              ;   in Loop: Header=BB19_12 Depth=1
	s_or_b32 exec_lo, exec_lo, s29
.LBB19_25:                              ;   in Loop: Header=BB19_12 Depth=1
	s_wait_alu 0xfffe
	s_or_b32 exec_lo, exec_lo, s28
	s_delay_alu instid0(SALU_CYCLE_1)
	s_mov_b32 s28, exec_lo
	s_wait_loadcnt_dscnt 0x0
	global_inv scope:SCOPE_SE
	v_cmpx_lt_i32_e64 v6, v32
	s_cbranch_execz .LBB19_38
; %bb.26:                               ;   in Loop: Header=BB19_12 Depth=1
	v_mad_co_u64_u32 v[17:18], null, v6, 9, 8
	s_mov_b32 s29, 0
	s_branch .LBB19_28
.LBB19_27:                              ;   in Loop: Header=BB19_28 Depth=2
	s_or_b32 exec_lo, exec_lo, s31
	s_delay_alu instid0(SALU_CYCLE_1)
	s_and_b32 s0, exec_lo, s30
	s_wait_alu 0xfffe
	s_or_b32 s29, s0, s29
	s_wait_alu 0xfffe
	s_and_not1_b32 exec_lo, exec_lo, s29
	s_cbranch_execz .LBB19_37
.LBB19_28:                              ;   Parent Loop BB19_12 Depth=1
                                        ; =>  This Inner Loop Header: Depth=2
	v_ashrrev_i32_e32 v7, 31, v6
	s_mov_b32 s30, exec_lo
	s_delay_alu instid0(VALU_DEP_1) | instskip(NEXT) | instid1(VALU_DEP_1)
	v_lshlrev_b64_e32 v[0:1], 2, v[6:7]
	v_add_co_u32 v0, vcc_lo, s14, v0
	s_wait_alu 0xfffd
	s_delay_alu instid0(VALU_DEP_2) | instskip(SKIP_3) | instid1(VALU_DEP_1)
	v_add_co_ci_u32_e64 v1, null, s15, v1, vcc_lo
	global_load_b32 v0, v[0:1], off
	s_wait_loadcnt 0x0
	v_subrev_nc_u32_e32 v0, s5, v0
	v_sub_nc_u32_e32 v7, v0, v45
	s_delay_alu instid0(VALU_DEP_1)
	v_cmp_gt_u32_e64 s0, 64, v7
	v_cmpx_lt_u32_e32 63, v7
	s_xor_b32 s30, exec_lo, s30
; %bb.29:                               ;   in Loop: Header=BB19_28 Depth=2
	v_min_i32_e32 v44, v0, v44
                                        ; implicit-def: $vgpr7
; %bb.30:                               ;   in Loop: Header=BB19_28 Depth=2
	s_and_not1_saveexec_b32 s30, s30
	s_cbranch_execz .LBB19_35
; %bb.31:                               ;   in Loop: Header=BB19_28 Depth=2
	v_add_nc_u32_e32 v9, -8, v17
	v_add_nc_u32_e32 v19, -2, v17
	;; [unrolled: 1-line block ×5, first 2 shown]
	v_lshlrev_b64_e32 v[0:1], 3, v[9:10]
	v_add_nc_u32_e32 v9, -5, v17
	s_mov_b32 s31, -1
	s_wait_kmcnt 0x0
	s_delay_alu instid0(VALU_DEP_2)
	v_add_co_u32 v0, vcc_lo, s12, v0
	s_wait_alu 0xfffd
	v_add_co_ci_u32_e64 v1, null, s13, v1, vcc_lo
	s_and_not1_b32 vcc_lo, exec_lo, s1
	global_load_b64 v[20:21], v[0:1], off
	v_mul_lo_u32 v0, 0x48, v7
	v_add_nc_u32_e32 v7, v29, v7
	s_delay_alu instid0(VALU_DEP_2)
	v_add_nc_u32_e32 v5, v30, v0
	ds_load_2addr_b64 v[0:3], v5 offset1:1
	s_wait_loadcnt_dscnt 0x0
	v_fma_f32 v18, s2, v20, v0
	v_fma_f32 v47, s23, v20, v1
	v_add_nc_u32_e32 v0, -1, v17
	s_delay_alu instid0(VALU_DEP_3) | instskip(NEXT) | instid1(VALU_DEP_3)
	v_fma_f32 v46, -s23, v21, v18
	v_fmac_f32_e32 v47, s2, v21
	v_add_nc_u32_e32 v21, -3, v17
	ds_store_b8 v7, v43
	ds_store_b64 v5, v[46:47]
	s_wait_alu 0xfffe
	s_cbranch_vccnz .LBB19_33
; %bb.32:                               ;   in Loop: Header=BB19_28 Depth=2
	v_dual_mov_b32 v20, v10 :: v_dual_mov_b32 v1, v10
	v_mov_b32_e32 v28, v10
	v_lshlrev_b64_e32 v[46:47], 3, v[9:10]
	v_mov_b32_e32 v24, v10
	s_delay_alu instid0(VALU_DEP_4)
	v_lshlrev_b64_e32 v[48:49], 3, v[19:20]
	v_lshlrev_b64_e32 v[54:55], 3, v[0:1]
	;; [unrolled: 1-line block ×3, first 2 shown]
	v_mov_b32_e32 v22, v10
	v_add_co_u32 v46, vcc_lo, s12, v46
	v_lshlrev_b64_e32 v[52:53], 3, v[23:24]
	s_wait_alu 0xfffd
	v_add_co_ci_u32_e64 v47, null, s13, v47, vcc_lo
	v_add_co_u32 v48, vcc_lo, s12, v48
	s_wait_alu 0xfffd
	v_add_co_ci_u32_e64 v49, null, s13, v49, vcc_lo
	v_add_co_u32 v50, vcc_lo, s12, v50
	s_wait_alu 0xfffd
	v_add_co_ci_u32_e64 v51, null, s13, v51, vcc_lo
	v_add_co_u32 v52, vcc_lo, s12, v52
	s_wait_alu 0xfffd
	v_add_co_ci_u32_e64 v53, null, s13, v53, vcc_lo
	v_add_co_u32 v54, vcc_lo, s12, v54
	s_wait_alu 0xfffd
	v_add_co_ci_u32_e64 v55, null, s13, v55, vcc_lo
	s_clause 0x4
	global_load_b64 v[58:59], v[46:47], off
	global_load_b64 v[60:61], v[48:49], off
	global_load_b64 v[62:63], v[50:51], off
	global_load_b64 v[64:65], v[52:53], off
	global_load_b64 v[66:67], v[54:55], off
	v_mov_b32_e32 v26, v10
	v_mov_b32_e32 v18, v10
	v_lshlrev_b64_e32 v[46:47], 3, v[21:22]
	s_mov_b32 s31, 0
	s_delay_alu instid0(VALU_DEP_3) | instskip(NEXT) | instid1(VALU_DEP_3)
	v_lshlrev_b64_e32 v[56:57], 3, v[25:26]
	v_lshlrev_b64_e32 v[50:51], 3, v[17:18]
	s_delay_alu instid0(VALU_DEP_2) | instskip(SKIP_1) | instid1(VALU_DEP_3)
	v_add_co_u32 v48, vcc_lo, s12, v56
	s_wait_alu 0xfffd
	v_add_co_ci_u32_e64 v49, null, s13, v57, vcc_lo
	v_add_co_u32 v46, vcc_lo, s12, v46
	s_wait_alu 0xfffd
	v_add_co_ci_u32_e64 v47, null, s13, v47, vcc_lo
	;; [unrolled: 3-line block ×3, first 2 shown]
	s_clause 0x2
	global_load_b64 v[68:69], v[48:49], off
	global_load_b64 v[70:71], v[46:47], off
	;; [unrolled: 1-line block ×3, first 2 shown]
	ds_load_2addr_b64 v[46:49], v5 offset0:2 offset1:3
	ds_load_2addr_b64 v[50:53], v5 offset0:4 offset1:5
	;; [unrolled: 1-line block ×3, first 2 shown]
	ds_load_b64 v[74:75], v5 offset:64
	s_wait_loadcnt 0x7
	v_fma_f32 v1, s2, v58, v2
	v_fma_f32 v77, s23, v58, v3
	s_wait_loadcnt_dscnt 0x603
	v_fma_f32 v47, s23, v60, v47
	s_wait_loadcnt 0x5
	v_fma_f32 v7, s2, v62, v48
	v_fmac_f32_e32 v49, s23, v62
	v_fma_f32 v76, -s23, v59, v1
	v_fma_f32 v1, s2, v60, v46
	s_wait_loadcnt_dscnt 0x402
	v_fma_f32 v18, s2, v64, v50
	v_fma_f32 v51, s23, v64, v51
	s_wait_loadcnt 0x3
	v_fma_f32 v20, s2, v66, v52
	v_fmac_f32_e32 v53, s23, v66
	v_fmac_f32_e32 v77, s2, v59
	v_fma_f32 v46, -s23, v61, v1
	v_fmac_f32_e32 v47, s2, v61
	v_fma_f32 v48, -s23, v63, v7
	;; [unrolled: 2-line block ×4, first 2 shown]
	v_fmac_f32_e32 v53, s2, v67
	s_wait_loadcnt_dscnt 0x201
	v_fma_f32 v22, s2, v68, v54
	v_fma_f32 v55, s23, v68, v55
	s_wait_loadcnt 0x1
	v_fma_f32 v24, s2, v70, v56
	v_fmac_f32_e32 v57, s23, v70
	s_wait_loadcnt_dscnt 0x0
	v_fma_f32 v26, s2, v72, v74
	v_fmac_f32_e32 v75, s23, v72
	v_fma_f32 v54, -s23, v69, v22
	v_fmac_f32_e32 v55, s2, v69
	v_fma_f32 v56, -s23, v71, v24
	;; [unrolled: 2-line block ×3, first 2 shown]
	v_fmac_f32_e32 v75, s2, v73
	ds_store_2addr_b64 v5, v[76:77], v[46:47] offset0:1 offset1:2
	ds_store_2addr_b64 v5, v[48:49], v[50:51] offset0:3 offset1:4
	;; [unrolled: 1-line block ×4, first 2 shown]
.LBB19_33:                              ;   in Loop: Header=BB19_28 Depth=2
	s_and_not1_b32 vcc_lo, exec_lo, s31
	s_wait_alu 0xfffe
	s_cbranch_vccnz .LBB19_35
; %bb.34:                               ;   in Loop: Header=BB19_28 Depth=2
	v_dual_mov_b32 v28, v10 :: v_dual_mov_b32 v1, v10
	v_mov_b32_e32 v26, v10
	v_mov_b32_e32 v24, v10
	;; [unrolled: 1-line block ×3, first 2 shown]
	s_delay_alu instid0(VALU_DEP_4)
	v_lshlrev_b64_e32 v[27:28], 3, v[27:28]
	v_lshlrev_b64_e32 v[46:47], 3, v[9:10]
	;; [unrolled: 1-line block ×5, first 2 shown]
	v_mov_b32_e32 v20, v10
	v_add_co_u32 v27, vcc_lo, s12, v27
	s_wait_alu 0xfffd
	v_add_co_ci_u32_e64 v28, null, s13, v28, vcc_lo
	v_add_co_u32 v25, vcc_lo, s12, v25
	s_wait_alu 0xfffd
	v_add_co_ci_u32_e64 v26, null, s13, v26, vcc_lo
	;; [unrolled: 3-line block ×3, first 2 shown]
	v_add_co_u32 v23, vcc_lo, s12, v23
	v_mov_b32_e32 v18, v10
	v_lshlrev_b64_e32 v[19:20], 3, v[19:20]
	s_wait_alu 0xfffd
	v_add_co_ci_u32_e64 v24, null, s13, v24, vcc_lo
	v_add_co_u32 v21, vcc_lo, s12, v21
	v_lshlrev_b64_e32 v[0:1], 3, v[0:1]
	s_wait_alu 0xfffd
	v_add_co_ci_u32_e64 v22, null, s13, v22, vcc_lo
	s_clause 0x4
	global_load_b64 v[27:28], v[27:28], off
	global_load_b64 v[50:51], v[25:26], off
	;; [unrolled: 1-line block ×5, first 2 shown]
	v_lshlrev_b64_e32 v[21:22], 3, v[17:18]
	v_add_co_u32 v19, vcc_lo, s12, v19
	s_wait_alu 0xfffd
	v_add_co_ci_u32_e64 v20, null, s13, v20, vcc_lo
	v_add_co_u32 v0, vcc_lo, s12, v0
	s_wait_alu 0xfffd
	v_add_co_ci_u32_e64 v1, null, s13, v1, vcc_lo
	;; [unrolled: 3-line block ×3, first 2 shown]
	s_clause 0x2
	global_load_b64 v[58:59], v[19:20], off
	global_load_b64 v[0:1], v[0:1], off
	;; [unrolled: 1-line block ×3, first 2 shown]
	ds_load_2addr_b64 v[18:21], v5 offset0:2 offset1:3
	ds_load_2addr_b64 v[22:25], v5 offset0:4 offset1:5
	;; [unrolled: 1-line block ×3, first 2 shown]
	ds_load_b64 v[62:63], v5 offset:64
	s_wait_loadcnt 0x7
	v_fmac_f32_e32 v3, s23, v27
	v_fma_f32 v2, s2, v27, v2
	s_wait_loadcnt_dscnt 0x503
	v_fmac_f32_e32 v21, s23, v52
	v_fma_f32 v7, s2, v50, v18
	s_wait_loadcnt_dscnt 0x302
	v_fmac_f32_e32 v25, s23, v56
	v_fma_f32 v19, s23, v50, v19
	v_fma_f32 v9, s2, v52, v20
	;; [unrolled: 1-line block ×4, first 2 shown]
	v_fmac_f32_e32 v3, s2, v28
	v_fma_f32 v23, s23, v54, v23
	v_fmac_f32_e32 v21, s2, v53
	v_fmac_f32_e32 v25, s2, v57
	v_fma_f32 v18, -s23, v51, v7
	v_fmac_f32_e32 v19, s2, v51
	v_fma_f32 v22, -s23, v55, v20
	v_fma_f32 v20, -s23, v57, v24
	s_wait_loadcnt_dscnt 0x201
	v_fma_f32 v26, s2, v58, v46
	s_wait_loadcnt 0x1
	v_fmac_f32_e32 v49, s23, v0
	v_fma_f32 v46, s2, v0, v48
	v_fma_f32 v27, s23, v58, v47
	s_wait_loadcnt_dscnt 0x0
	v_fma_f32 v47, s2, v60, v62
	v_fmac_f32_e32 v63, s23, v60
	v_fmac_f32_e32 v49, s2, v1
	v_fma_f32 v0, -s23, v28, v2
	v_fma_f32 v24, -s23, v1, v46
	v_mov_b32_e32 v1, v3
	v_fma_f32 v2, -s23, v53, v9
	v_fmac_f32_e32 v23, s2, v55
	v_mov_b32_e32 v3, v21
	v_fma_f32 v26, -s23, v59, v26
	v_fmac_f32_e32 v27, s2, v59
	;; [unrolled: 3-line block ×3, first 2 shown]
	v_mov_b32_e32 v25, v49
	ds_store_2addr_b64 v5, v[0:1], v[18:19] offset0:1 offset1:2
	ds_store_2addr_b64 v5, v[2:3], v[22:23] offset0:3 offset1:4
	;; [unrolled: 1-line block ×4, first 2 shown]
.LBB19_35:                              ;   in Loop: Header=BB19_28 Depth=2
	s_or_b32 exec_lo, exec_lo, s30
	s_mov_b32 s30, -1
	s_and_saveexec_b32 s31, s0
	s_cbranch_execz .LBB19_27
; %bb.36:                               ;   in Loop: Header=BB19_28 Depth=2
	v_add_nc_u32_e32 v6, 64, v6
	v_add_nc_u32_e32 v17, 0x240, v17
	s_delay_alu instid0(VALU_DEP_2)
	v_cmp_ge_i32_e32 vcc_lo, v6, v32
	s_or_not1_b32 s30, vcc_lo, exec_lo
	s_branch .LBB19_27
.LBB19_37:                              ;   in Loop: Header=BB19_12 Depth=1
	s_or_b32 exec_lo, exec_lo, s29
.LBB19_38:                              ;   in Loop: Header=BB19_12 Depth=1
	s_wait_alu 0xfffe
	s_or_b32 exec_lo, exec_lo, s28
	s_wait_loadcnt_dscnt 0x0
	global_inv scope:SCOPE_SE
	ds_load_u8 v0, v42
	s_mov_b32 s28, exec_lo
	s_wait_dscnt 0x0
	v_and_b32_e32 v1, 1, v0
	v_cmp_ne_u16_e32 vcc_lo, 0, v0
	s_delay_alu instid0(VALU_DEP_2)
	v_cmpx_eq_u32_e32 1, v1
	s_cbranch_execz .LBB19_11
; %bb.39:                               ;   in Loop: Header=BB19_12 Depth=1
	s_wait_alu 0xfffd
	v_dual_mov_b32 v19, v10 :: v_dual_and_b32 v0, vcc_lo, v8
	v_add_nc_u32_e32 v5, v35, v45
	v_add_nc_u32_e32 v7, s20, v34
	;; [unrolled: 1-line block ×3, first 2 shown]
	s_delay_alu instid0(VALU_DEP_4) | instskip(SKIP_3) | instid1(VALU_DEP_4)
	v_bcnt_u32_b32 v0, v0, 0
	v_add_nc_u32_e32 v59, s26, v34
	v_dual_mov_b32 v46, v10 :: v_dual_add_nc_u32 v61, s27, v34
	v_mov_b32_e32 v48, v10
	v_add3_u32 v17, v33, v0, -1
	ds_load_2addr_b64 v[0:3], v34 offset1:4
	v_mov_b32_e32 v50, v10
	v_ashrrev_i32_e32 v18, 31, v17
	v_lshl_add_u32 v9, v17, 3, v17
	v_mov_b32_e32 v21, v10
	v_mov_b32_e32 v23, v10
	s_delay_alu instid0(VALU_DEP_4) | instskip(NEXT) | instid1(VALU_DEP_4)
	v_lshlrev_b64_e32 v[24:25], 2, v[17:18]
	v_add_nc_u32_e32 v18, 1, v9
	v_add_nc_u32_e32 v20, 2, v9
	v_lshlrev_b64_e32 v[26:27], 3, v[9:10]
	v_add_nc_u32_e32 v22, 3, v9
	v_add_nc_u32_e32 v17, 4, v9
	s_wait_kmcnt 0x0
	v_add_co_u32 v24, s0, s16, v24
	v_lshlrev_b64_e32 v[18:19], 3, v[18:19]
	s_wait_alu 0xf1ff
	v_add_co_ci_u32_e64 v25, null, s17, v25, s0
	v_lshlrev_b64_e32 v[20:21], 3, v[20:21]
	v_lshlrev_b64_e32 v[22:23], 3, v[22:23]
	v_add_co_u32 v26, s0, s18, v26
	s_wait_alu 0xf1ff
	v_add_co_ci_u32_e64 v27, null, s19, v27, s0
	global_store_b32 v[24:25], v5, off
	v_add_co_u32 v24, s0, s18, v18
	s_wait_alu 0xf1ff
	v_add_co_ci_u32_e64 v25, null, s19, v19, s0
	v_add_co_u32 v19, s0, s18, v20
	s_wait_alu 0xf1ff
	v_add_co_ci_u32_e64 v20, null, s19, v21, s0
	v_add_co_u32 v21, s0, s18, v22
	v_add_nc_u32_e32 v5, s6, v34
	s_wait_alu 0xf1ff
	v_add_co_ci_u32_e64 v22, null, s19, v23, s0
	v_dual_mov_b32 v18, v10 :: v_dual_add_nc_u32 v23, s21, v34
	ds_load_b64 v[51:52], v5
	ds_load_b64 v[53:54], v7
	ds_load_b64 v[55:56], v23
	ds_load_b64 v[57:58], v28
	ds_load_b64 v[59:60], v59
	ds_load_b64 v[61:62], v61
	ds_load_b64 v[63:64], v34 offset:64
	v_add_nc_u32_e32 v45, 5, v9
	v_add_nc_u32_e32 v47, 6, v9
	v_lshlrev_b64_e32 v[17:18], 3, v[17:18]
	v_add_nc_u32_e32 v49, 7, v9
	v_add_nc_u32_e32 v9, 8, v9
	v_lshlrev_b64_e32 v[45:46], 3, v[45:46]
	v_lshlrev_b64_e32 v[47:48], 3, v[47:48]
	v_add_co_u32 v17, s0, s18, v17
	v_lshlrev_b64_e32 v[49:50], 3, v[49:50]
	s_wait_alu 0xf1ff
	v_add_co_ci_u32_e64 v18, null, s19, v18, s0
	v_add_co_u32 v45, s0, s18, v45
	v_lshlrev_b64_e32 v[65:66], 3, v[9:10]
	s_wait_alu 0xf1ff
	v_add_co_ci_u32_e64 v46, null, s19, v46, s0
	v_add_co_u32 v47, s0, s18, v47
	s_wait_alu 0xf1ff
	v_add_co_ci_u32_e64 v48, null, s19, v48, s0
	v_add_co_u32 v49, s0, s18, v49
	;; [unrolled: 3-line block ×3, first 2 shown]
	s_wait_alu 0xf1ff
	v_add_co_ci_u32_e64 v66, null, s19, v66, s0
	s_wait_dscnt 0x7
	global_store_b64 v[26:27], v[0:1], off
	s_wait_dscnt 0x6
	global_store_b64 v[24:25], v[51:52], off
	;; [unrolled: 2-line block ×3, first 2 shown]
	s_wait_dscnt 0x4
	s_clause 0x1
	global_store_b64 v[21:22], v[55:56], off
	global_store_b64 v[17:18], v[2:3], off
	s_wait_dscnt 0x3
	global_store_b64 v[45:46], v[57:58], off
	s_wait_dscnt 0x2
	;; [unrolled: 2-line block ×4, first 2 shown]
	global_store_b64 v[65:66], v[63:64], off
	s_branch .LBB19_11
.LBB19_40:
	s_endpgm
.LBB19_41:
	s_load_b32 s7, s[2:3], 0x0
	v_cndmask_b32_e64 v1, 0, 1, s8
	s_and_not1_b32 vcc_lo, exec_lo, s8
	s_cbranch_vccnz .LBB19_2
.LBB19_42:
	s_load_b32 s3, s[2:3], 0x4
	s_delay_alu instid0(VALU_DEP_1)
	v_cmp_ne_u32_e32 vcc_lo, 1, v1
	s_mov_b32 s2, s22
	s_cbranch_vccnz .LBB19_3
.LBB19_43:
	s_load_b32 s2, s[22:23], 0x0
	v_cmp_ne_u32_e32 vcc_lo, 1, v1
	s_cbranch_vccz .LBB19_4
	s_branch .LBB19_5
	.section	.rodata,"a",@progbits
	.p2align	6, 0x0
	.amdhsa_kernel _ZN9rocsparseL39bsrgeam_wf_per_row_multipass_2_3_kernelILj256ELj3ELj64E21rocsparse_complex_numIfEEEv20rocsparse_direction_iiiNS_24const_host_device_scalarIT2_EEPKiS8_PKS5_S6_S8_S8_SA_S8_PiPS5_21rocsparse_index_base_SD_SD_b
		.amdhsa_group_segment_fixed_size 18688
		.amdhsa_private_segment_fixed_size 0
		.amdhsa_kernarg_size 120
		.amdhsa_user_sgpr_count 2
		.amdhsa_user_sgpr_dispatch_ptr 0
		.amdhsa_user_sgpr_queue_ptr 0
		.amdhsa_user_sgpr_kernarg_segment_ptr 1
		.amdhsa_user_sgpr_dispatch_id 0
		.amdhsa_user_sgpr_private_segment_size 0
		.amdhsa_wavefront_size32 1
		.amdhsa_uses_dynamic_stack 0
		.amdhsa_enable_private_segment 0
		.amdhsa_system_sgpr_workgroup_id_x 1
		.amdhsa_system_sgpr_workgroup_id_y 0
		.amdhsa_system_sgpr_workgroup_id_z 0
		.amdhsa_system_sgpr_workgroup_info 0
		.amdhsa_system_vgpr_workitem_id 0
		.amdhsa_next_free_vgpr 78
		.amdhsa_next_free_sgpr 32
		.amdhsa_reserve_vcc 1
		.amdhsa_float_round_mode_32 0
		.amdhsa_float_round_mode_16_64 0
		.amdhsa_float_denorm_mode_32 3
		.amdhsa_float_denorm_mode_16_64 3
		.amdhsa_fp16_overflow 0
		.amdhsa_workgroup_processor_mode 1
		.amdhsa_memory_ordered 1
		.amdhsa_forward_progress 1
		.amdhsa_inst_pref_size 39
		.amdhsa_round_robin_scheduling 0
		.amdhsa_exception_fp_ieee_invalid_op 0
		.amdhsa_exception_fp_denorm_src 0
		.amdhsa_exception_fp_ieee_div_zero 0
		.amdhsa_exception_fp_ieee_overflow 0
		.amdhsa_exception_fp_ieee_underflow 0
		.amdhsa_exception_fp_ieee_inexact 0
		.amdhsa_exception_int_div_zero 0
	.end_amdhsa_kernel
	.section	.text._ZN9rocsparseL39bsrgeam_wf_per_row_multipass_2_3_kernelILj256ELj3ELj64E21rocsparse_complex_numIfEEEv20rocsparse_direction_iiiNS_24const_host_device_scalarIT2_EEPKiS8_PKS5_S6_S8_S8_SA_S8_PiPS5_21rocsparse_index_base_SD_SD_b,"axG",@progbits,_ZN9rocsparseL39bsrgeam_wf_per_row_multipass_2_3_kernelILj256ELj3ELj64E21rocsparse_complex_numIfEEEv20rocsparse_direction_iiiNS_24const_host_device_scalarIT2_EEPKiS8_PKS5_S6_S8_S8_SA_S8_PiPS5_21rocsparse_index_base_SD_SD_b,comdat
.Lfunc_end19:
	.size	_ZN9rocsparseL39bsrgeam_wf_per_row_multipass_2_3_kernelILj256ELj3ELj64E21rocsparse_complex_numIfEEEv20rocsparse_direction_iiiNS_24const_host_device_scalarIT2_EEPKiS8_PKS5_S6_S8_S8_SA_S8_PiPS5_21rocsparse_index_base_SD_SD_b, .Lfunc_end19-_ZN9rocsparseL39bsrgeam_wf_per_row_multipass_2_3_kernelILj256ELj3ELj64E21rocsparse_complex_numIfEEEv20rocsparse_direction_iiiNS_24const_host_device_scalarIT2_EEPKiS8_PKS5_S6_S8_S8_SA_S8_PiPS5_21rocsparse_index_base_SD_SD_b
                                        ; -- End function
	.set _ZN9rocsparseL39bsrgeam_wf_per_row_multipass_2_3_kernelILj256ELj3ELj64E21rocsparse_complex_numIfEEEv20rocsparse_direction_iiiNS_24const_host_device_scalarIT2_EEPKiS8_PKS5_S6_S8_S8_SA_S8_PiPS5_21rocsparse_index_base_SD_SD_b.num_vgpr, 78
	.set _ZN9rocsparseL39bsrgeam_wf_per_row_multipass_2_3_kernelILj256ELj3ELj64E21rocsparse_complex_numIfEEEv20rocsparse_direction_iiiNS_24const_host_device_scalarIT2_EEPKiS8_PKS5_S6_S8_S8_SA_S8_PiPS5_21rocsparse_index_base_SD_SD_b.num_agpr, 0
	.set _ZN9rocsparseL39bsrgeam_wf_per_row_multipass_2_3_kernelILj256ELj3ELj64E21rocsparse_complex_numIfEEEv20rocsparse_direction_iiiNS_24const_host_device_scalarIT2_EEPKiS8_PKS5_S6_S8_S8_SA_S8_PiPS5_21rocsparse_index_base_SD_SD_b.numbered_sgpr, 32
	.set _ZN9rocsparseL39bsrgeam_wf_per_row_multipass_2_3_kernelILj256ELj3ELj64E21rocsparse_complex_numIfEEEv20rocsparse_direction_iiiNS_24const_host_device_scalarIT2_EEPKiS8_PKS5_S6_S8_S8_SA_S8_PiPS5_21rocsparse_index_base_SD_SD_b.num_named_barrier, 0
	.set _ZN9rocsparseL39bsrgeam_wf_per_row_multipass_2_3_kernelILj256ELj3ELj64E21rocsparse_complex_numIfEEEv20rocsparse_direction_iiiNS_24const_host_device_scalarIT2_EEPKiS8_PKS5_S6_S8_S8_SA_S8_PiPS5_21rocsparse_index_base_SD_SD_b.private_seg_size, 0
	.set _ZN9rocsparseL39bsrgeam_wf_per_row_multipass_2_3_kernelILj256ELj3ELj64E21rocsparse_complex_numIfEEEv20rocsparse_direction_iiiNS_24const_host_device_scalarIT2_EEPKiS8_PKS5_S6_S8_S8_SA_S8_PiPS5_21rocsparse_index_base_SD_SD_b.uses_vcc, 1
	.set _ZN9rocsparseL39bsrgeam_wf_per_row_multipass_2_3_kernelILj256ELj3ELj64E21rocsparse_complex_numIfEEEv20rocsparse_direction_iiiNS_24const_host_device_scalarIT2_EEPKiS8_PKS5_S6_S8_S8_SA_S8_PiPS5_21rocsparse_index_base_SD_SD_b.uses_flat_scratch, 0
	.set _ZN9rocsparseL39bsrgeam_wf_per_row_multipass_2_3_kernelILj256ELj3ELj64E21rocsparse_complex_numIfEEEv20rocsparse_direction_iiiNS_24const_host_device_scalarIT2_EEPKiS8_PKS5_S6_S8_S8_SA_S8_PiPS5_21rocsparse_index_base_SD_SD_b.has_dyn_sized_stack, 0
	.set _ZN9rocsparseL39bsrgeam_wf_per_row_multipass_2_3_kernelILj256ELj3ELj64E21rocsparse_complex_numIfEEEv20rocsparse_direction_iiiNS_24const_host_device_scalarIT2_EEPKiS8_PKS5_S6_S8_S8_SA_S8_PiPS5_21rocsparse_index_base_SD_SD_b.has_recursion, 0
	.set _ZN9rocsparseL39bsrgeam_wf_per_row_multipass_2_3_kernelILj256ELj3ELj64E21rocsparse_complex_numIfEEEv20rocsparse_direction_iiiNS_24const_host_device_scalarIT2_EEPKiS8_PKS5_S6_S8_S8_SA_S8_PiPS5_21rocsparse_index_base_SD_SD_b.has_indirect_call, 0
	.section	.AMDGPU.csdata,"",@progbits
; Kernel info:
; codeLenInByte = 4920
; TotalNumSgprs: 34
; NumVgprs: 78
; ScratchSize: 0
; MemoryBound: 0
; FloatMode: 240
; IeeeMode: 1
; LDSByteSize: 18688 bytes/workgroup (compile time only)
; SGPRBlocks: 0
; VGPRBlocks: 9
; NumSGPRsForWavesPerEU: 34
; NumVGPRsForWavesPerEU: 78
; Occupancy: 14
; WaveLimiterHint : 1
; COMPUTE_PGM_RSRC2:SCRATCH_EN: 0
; COMPUTE_PGM_RSRC2:USER_SGPR: 2
; COMPUTE_PGM_RSRC2:TRAP_HANDLER: 0
; COMPUTE_PGM_RSRC2:TGID_X_EN: 1
; COMPUTE_PGM_RSRC2:TGID_Y_EN: 0
; COMPUTE_PGM_RSRC2:TGID_Z_EN: 0
; COMPUTE_PGM_RSRC2:TIDIG_COMP_CNT: 0
	.section	.text._ZN9rocsparseL35bsrgeam_wf_per_row_multipass_kernelILj64ELj4E21rocsparse_complex_numIfEEEv20rocsparse_direction_iiiNS_24const_host_device_scalarIT1_EEPKiS8_PKS5_S6_S8_S8_SA_S8_PiPS5_21rocsparse_index_base_SD_SD_b,"axG",@progbits,_ZN9rocsparseL35bsrgeam_wf_per_row_multipass_kernelILj64ELj4E21rocsparse_complex_numIfEEEv20rocsparse_direction_iiiNS_24const_host_device_scalarIT1_EEPKiS8_PKS5_S6_S8_S8_SA_S8_PiPS5_21rocsparse_index_base_SD_SD_b,comdat
	.globl	_ZN9rocsparseL35bsrgeam_wf_per_row_multipass_kernelILj64ELj4E21rocsparse_complex_numIfEEEv20rocsparse_direction_iiiNS_24const_host_device_scalarIT1_EEPKiS8_PKS5_S6_S8_S8_SA_S8_PiPS5_21rocsparse_index_base_SD_SD_b ; -- Begin function _ZN9rocsparseL35bsrgeam_wf_per_row_multipass_kernelILj64ELj4E21rocsparse_complex_numIfEEEv20rocsparse_direction_iiiNS_24const_host_device_scalarIT1_EEPKiS8_PKS5_S6_S8_S8_SA_S8_PiPS5_21rocsparse_index_base_SD_SD_b
	.p2align	8
	.type	_ZN9rocsparseL35bsrgeam_wf_per_row_multipass_kernelILj64ELj4E21rocsparse_complex_numIfEEEv20rocsparse_direction_iiiNS_24const_host_device_scalarIT1_EEPKiS8_PKS5_S6_S8_S8_SA_S8_PiPS5_21rocsparse_index_base_SD_SD_b,@function
_ZN9rocsparseL35bsrgeam_wf_per_row_multipass_kernelILj64ELj4E21rocsparse_complex_numIfEEEv20rocsparse_direction_iiiNS_24const_host_device_scalarIT1_EEPKiS8_PKS5_S6_S8_S8_SA_S8_PiPS5_21rocsparse_index_base_SD_SD_b: ; @_ZN9rocsparseL35bsrgeam_wf_per_row_multipass_kernelILj64ELj4E21rocsparse_complex_numIfEEEv20rocsparse_direction_iiiNS_24const_host_device_scalarIT1_EEPKiS8_PKS5_S6_S8_S8_SA_S8_PiPS5_21rocsparse_index_base_SD_SD_b
; %bb.0:
	s_clause 0x2
	s_load_b128 s[4:7], s[0:1], 0x68
	s_load_b64 s[16:17], s[0:1], 0x10
	s_load_b64 s[18:19], s[0:1], 0x30
	s_wait_kmcnt 0x0
	s_bitcmp1_b32 s7, 0
	s_mov_b32 s7, s16
	s_cselect_b32 s3, -1, 0
	s_delay_alu instid0(SALU_CYCLE_1)
	s_xor_b32 s2, s3, -1
	s_and_b32 vcc_lo, exec_lo, s3
	s_cbranch_vccnz .LBB20_4
; %bb.1:
	s_load_b32 s7, s[16:17], 0x0
	v_cndmask_b32_e64 v1, 0, 1, s2
	s_and_not1_b32 vcc_lo, exec_lo, s2
	s_cbranch_vccz .LBB20_5
.LBB20_2:
	s_delay_alu instid0(VALU_DEP_1)
	v_cmp_ne_u32_e32 vcc_lo, 1, v1
	s_mov_b32 s16, s18
	s_cbranch_vccnz .LBB20_6
.LBB20_3:
	s_load_b32 s16, s[18:19], 0x0
	s_load_b64 s[12:13], s[0:1], 0x18
	v_cmp_ne_u32_e32 vcc_lo, 1, v1
	s_cbranch_vccz .LBB20_7
	s_branch .LBB20_8
.LBB20_4:
	v_cndmask_b32_e64 v1, 0, 1, s2
	s_and_not1_b32 vcc_lo, exec_lo, s2
	s_cbranch_vccnz .LBB20_2
.LBB20_5:
	s_load_b32 s17, s[16:17], 0x4
	s_delay_alu instid0(VALU_DEP_1)
	v_cmp_ne_u32_e32 vcc_lo, 1, v1
	s_mov_b32 s16, s18
	s_cbranch_vccz .LBB20_3
.LBB20_6:
	s_load_b64 s[12:13], s[0:1], 0x18
	v_cmp_ne_u32_e32 vcc_lo, 1, v1
	s_cbranch_vccnz .LBB20_8
.LBB20_7:
	s_load_b32 s19, s[18:19], 0x4
.LBB20_8:
	s_load_b128 s[8:11], s[0:1], 0x0
	v_lshrrev_b32_e32 v8, 4, v0
	v_mov_b32_e32 v15, 0
	v_mov_b32_e32 v1, 0
	s_delay_alu instid0(VALU_DEP_3) | instskip(NEXT) | instid1(VALU_DEP_1)
	v_lshl_or_b32 v6, ttmp9, 2, v8
	v_ashrrev_i32_e32 v7, 31, v6
	s_wait_kmcnt 0x0
	v_cmp_gt_i32_e64 s2, s9, v6
	v_cmp_le_i32_e32 vcc_lo, s9, v6
	s_and_saveexec_b32 s9, s2
	s_cbranch_execz .LBB20_10
; %bb.9:
	v_lshlrev_b64_e32 v[1:2], 2, v[6:7]
	s_delay_alu instid0(VALU_DEP_1) | instskip(SKIP_1) | instid1(VALU_DEP_2)
	v_add_co_u32 v1, s3, s12, v1
	s_wait_alu 0xf1ff
	v_add_co_ci_u32_e64 v2, null, s13, v2, s3
	global_load_b32 v1, v[1:2], off
	s_wait_loadcnt 0x0
	v_subrev_nc_u32_e32 v1, s4, v1
.LBB20_10:
	s_wait_alu 0xfffe
	s_or_b32 exec_lo, exec_lo, s9
	s_load_b64 s[14:15], s[0:1], 0x38
	s_and_saveexec_b32 s9, s2
	s_cbranch_execz .LBB20_12
; %bb.11:
	v_lshlrev_b64_e32 v[2:3], 2, v[6:7]
	s_delay_alu instid0(VALU_DEP_1) | instskip(SKIP_1) | instid1(VALU_DEP_2)
	v_add_co_u32 v2, s3, s12, v2
	s_wait_alu 0xf1ff
	v_add_co_ci_u32_e64 v3, null, s13, v3, s3
	global_load_b32 v2, v[2:3], off offset:4
	s_wait_loadcnt 0x0
	v_subrev_nc_u32_e32 v15, s4, v2
.LBB20_12:
	s_wait_alu 0xfffe
	s_or_b32 exec_lo, exec_lo, s9
	v_dual_mov_b32 v16, 0 :: v_dual_mov_b32 v3, 0
	s_and_saveexec_b32 s9, s2
	s_cbranch_execz .LBB20_14
; %bb.13:
	v_lshlrev_b64_e32 v[2:3], 2, v[6:7]
	s_wait_kmcnt 0x0
	s_delay_alu instid0(VALU_DEP_1) | instskip(SKIP_1) | instid1(VALU_DEP_2)
	v_add_co_u32 v2, s3, s14, v2
	s_wait_alu 0xf1ff
	v_add_co_ci_u32_e64 v3, null, s15, v3, s3
	global_load_b32 v2, v[2:3], off
	s_wait_loadcnt 0x0
	v_subrev_nc_u32_e32 v3, s5, v2
.LBB20_14:
	s_wait_alu 0xfffe
	s_or_b32 exec_lo, exec_lo, s9
	s_and_saveexec_b32 s9, s2
	s_cbranch_execz .LBB20_16
; %bb.15:
	v_lshlrev_b64_e32 v[4:5], 2, v[6:7]
	s_wait_kmcnt 0x0
	s_delay_alu instid0(VALU_DEP_1) | instskip(SKIP_1) | instid1(VALU_DEP_2)
	v_add_co_u32 v4, s3, s14, v4
	s_wait_alu 0xf1ff
	v_add_co_ci_u32_e64 v5, null, s15, v5, s3
	global_load_b32 v2, v[4:5], off offset:4
	s_wait_loadcnt 0x0
	v_subrev_nc_u32_e32 v16, s5, v2
.LBB20_16:
	s_wait_alu 0xfffe
	s_or_b32 exec_lo, exec_lo, s9
	s_load_b64 s[20:21], s[0:1], 0x20
	v_mov_b32_e32 v5, 0
	s_and_saveexec_b32 s3, s2
	s_cbranch_execz .LBB20_18
; %bb.17:
	s_load_b64 s[12:13], s[0:1], 0x50
	v_lshlrev_b64_e32 v[4:5], 2, v[6:7]
	s_wait_kmcnt 0x0
	s_delay_alu instid0(VALU_DEP_1) | instskip(SKIP_1) | instid1(VALU_DEP_2)
	v_add_co_u32 v4, s2, s12, v4
	s_wait_alu 0xf1ff
	v_add_co_ci_u32_e64 v5, null, s13, v5, s2
	global_load_b32 v2, v[4:5], off
	s_wait_loadcnt 0x0
	v_subrev_nc_u32_e32 v5, s6, v2
.LBB20_18:
	s_wait_alu 0xfffe
	s_or_b32 exec_lo, exec_lo, s3
	s_load_b64 s[22:23], s[0:1], 0x40
	v_mov_b32_e32 v2, s10
	s_mov_b32 s3, exec_lo
	v_cmpx_lt_i32_e64 v1, v15
	s_cbranch_execz .LBB20_20
; %bb.19:
	v_ashrrev_i32_e32 v2, 31, v1
	s_delay_alu instid0(VALU_DEP_1) | instskip(SKIP_1) | instid1(VALU_DEP_1)
	v_lshlrev_b64_e32 v[6:7], 2, v[1:2]
	s_wait_kmcnt 0x0
	v_add_co_u32 v6, s2, s20, v6
	s_wait_alu 0xf1ff
	s_delay_alu instid0(VALU_DEP_2)
	v_add_co_ci_u32_e64 v7, null, s21, v7, s2
	global_load_b32 v2, v[6:7], off
	s_wait_loadcnt 0x0
	v_subrev_nc_u32_e32 v2, s4, v2
.LBB20_20:
	s_wait_alu 0xfffe
	s_or_b32 exec_lo, exec_lo, s3
	v_mov_b32_e32 v4, s10
	s_mov_b32 s3, exec_lo
	v_cmpx_lt_i32_e64 v3, v16
	s_cbranch_execz .LBB20_22
; %bb.21:
	v_ashrrev_i32_e32 v4, 31, v3
	s_delay_alu instid0(VALU_DEP_1) | instskip(SKIP_1) | instid1(VALU_DEP_1)
	v_lshlrev_b64_e32 v[6:7], 2, v[3:4]
	s_wait_kmcnt 0x0
	v_add_co_u32 v6, s2, s22, v6
	s_wait_alu 0xf1ff
	s_delay_alu instid0(VALU_DEP_2)
	v_add_co_ci_u32_e64 v7, null, s23, v7, s2
	global_load_b32 v4, v[6:7], off
	s_wait_loadcnt 0x0
	v_subrev_nc_u32_e32 v4, s5, v4
.LBB20_22:
	s_wait_alu 0xfffe
	s_or_b32 exec_lo, exec_lo, s3
	v_cndmask_b32_e64 v9, 0, 1, vcc_lo
	v_dual_mov_b32 v7, 0 :: v_dual_lshlrev_b32 v6, 2, v8
	ds_store_b32 v6, v9 offset:512
	s_wait_dscnt 0x0
	s_barrier_signal -1
	s_barrier_wait -1
	global_inv scope:SCOPE_SE
	ds_load_b32 v9, v7 offset:512
	s_wait_dscnt 0x0
	v_cmp_lt_u32_e32 vcc_lo, 3, v9
	s_cbranch_vccnz .LBB20_65
; %bb.23:
	s_wait_kmcnt 0x0
	s_clause 0x2
	s_load_b128 s[12:15], s[0:1], 0x58
	s_load_b64 s[24:25], s[0:1], 0x28
	s_load_b64 s[26:27], s[0:1], 0x48
	v_and_b32_e32 v9, 3, v0
	v_bfe_u32 v10, v0, 2, 2
	v_and_b32_e32 v11, 48, v0
	v_or_b32_e32 v17, 0x200, v6
	v_min_i32_e32 v23, v4, v2
	v_lshl_or_b32 v18, v8, 2, 0x210
	v_lshlrev_b32_e32 v6, 5, v10
	v_lshlrev_b32_e32 v8, 3, v9
	v_lshlrev_b32_e32 v19, 3, v0
	v_cmp_gt_u32_e64 s1, 2, v0
	v_lshl_or_b32 v22, v0, 2, 0x200
	v_cmp_eq_u32_e64 s2, 0, v0
	v_mov_b32_e32 v0, 1
	v_lshlrev_b32_e32 v4, 3, v11
	v_lshlrev_b32_e32 v12, 3, v10
	s_cmp_lg_u32 s8, 0
	s_mul_i32 s9, s11, s11
	s_cselect_b32 s8, -1, 0
	v_or3_b32 v20, v4, v6, v8
	v_mov_b32_e32 v8, v7
	v_max_i32_e32 v2, v10, v9
	v_lshlrev_b32_e32 v11, 5, v9
	s_delay_alu instid0(VALU_DEP_2) | instskip(NEXT) | instid1(VALU_DEP_2)
	v_cmp_gt_i32_e64 s0, s11, v2
	v_or3_b32 v21, v4, v11, v12
	s_branch .LBB20_25
.LBB20_24:                              ;   in Loop: Header=BB20_25 Depth=1
	s_wait_alu 0xfffe
	s_or_b32 exec_lo, exec_lo, s3
	s_wait_loadcnt_dscnt 0x0
	s_barrier_signal -1
	s_barrier_wait -1
	global_inv scope:SCOPE_SE
	ds_load_b32 v4, v7 offset:512
	v_add_nc_u32_e32 v5, 1, v5
	v_mov_b32_e32 v23, v2
	s_wait_dscnt 0x0
	v_cmp_gt_u32_e32 vcc_lo, 4, v4
	s_cbranch_vccz .LBB20_65
.LBB20_25:                              ; =>This Loop Header: Depth=1
                                        ;     Child Loop BB20_28 Depth 2
                                        ;     Child Loop BB20_43 Depth 2
	v_mov_b32_e32 v2, s10
	s_mov_b32 s18, exec_lo
	ds_store_b32 v18, v7
	ds_store_b64 v19, v[7:8]
	s_wait_loadcnt_dscnt 0x0
	s_barrier_signal -1
	s_barrier_wait -1
	global_inv scope:SCOPE_SE
	v_cmpx_lt_i32_e64 v1, v15
	s_cbranch_execz .LBB20_40
; %bb.26:                               ;   in Loop: Header=BB20_25 Depth=1
	v_mul_lo_u32 v4, s11, v1
	v_ashrrev_i32_e32 v2, 31, v1
	s_mov_b32 s28, 0
	s_delay_alu instid0(VALU_DEP_1) | instskip(SKIP_1) | instid1(VALU_DEP_4)
	v_lshlrev_b64_e32 v[24:25], 2, v[1:2]
	v_mov_b32_e32 v2, s10
	v_add_nc_u32_e32 v6, v9, v4
	v_add_nc_u32_e32 v4, v10, v4
	s_delay_alu instid0(VALU_DEP_2) | instskip(NEXT) | instid1(VALU_DEP_2)
	v_mad_co_u64_u32 v[11:12], null, s11, v6, v[10:11]
	v_mad_co_u64_u32 v[12:13], null, s11, v4, v[9:10]
	v_add_co_u32 v13, vcc_lo, s20, v24
	s_wait_alu 0xfffd
	v_add_co_ci_u32_e64 v14, null, s21, v25, vcc_lo
	v_mov_b32_e32 v4, 0
	s_branch .LBB20_28
.LBB20_27:                              ;   in Loop: Header=BB20_28 Depth=2
	s_or_b32 exec_lo, exec_lo, s29
	v_dual_mov_b32 v24, v1 :: v_dual_mov_b32 v1, v6
	s_and_b32 s3, exec_lo, s30
	s_wait_alu 0xfffe
	s_or_b32 s28, s3, s28
	s_delay_alu instid0(SALU_CYCLE_1)
	s_and_not1_b32 exec_lo, exec_lo, s28
	s_cbranch_execz .LBB20_39
.LBB20_28:                              ;   Parent Loop BB20_25 Depth=1
                                        ; =>  This Inner Loop Header: Depth=2
	global_load_b32 v6, v[13:14], off
	s_wait_loadcnt 0x0
	v_subrev_nc_u32_e32 v6, s4, v6
	s_delay_alu instid0(VALU_DEP_1) | instskip(SKIP_1) | instid1(SALU_CYCLE_1)
	v_cmp_le_i32_e64 s3, v6, v23
	s_and_saveexec_b32 s29, s3
	s_xor_b32 s29, exec_lo, s29
	s_cbranch_execz .LBB20_34
; %bb.29:                               ;   in Loop: Header=BB20_28 Depth=2
	ds_store_b32 v18, v0
	s_and_saveexec_b32 s30, s0
	s_cbranch_execz .LBB20_33
; %bb.30:                               ;   in Loop: Header=BB20_28 Depth=2
	s_wait_alu 0xfffe
	s_and_b32 vcc_lo, exec_lo, s8
	s_wait_alu 0xfffe
	s_cbranch_vccz .LBB20_38
; %bb.31:                               ;   in Loop: Header=BB20_28 Depth=2
	v_add_nc_u32_e32 v24, v12, v4
	s_delay_alu instid0(VALU_DEP_1) | instskip(NEXT) | instid1(VALU_DEP_1)
	v_ashrrev_i32_e32 v25, 31, v24
	v_lshlrev_b64_e32 v[24:25], 3, v[24:25]
	s_wait_kmcnt 0x0
	s_delay_alu instid0(VALU_DEP_1) | instskip(SKIP_1) | instid1(VALU_DEP_2)
	v_add_co_u32 v24, vcc_lo, s24, v24
	s_wait_alu 0xfffd
	v_add_co_ci_u32_e64 v25, null, s25, v25, vcc_lo
	global_load_b64 v[24:25], v[24:25], off
	s_wait_loadcnt 0x0
	v_mul_f32_e64 v26, v25, -s17
	s_delay_alu instid0(VALU_DEP_1) | instskip(NEXT) | instid1(VALU_DEP_1)
	v_dual_mul_f32 v27, s7, v25 :: v_dual_fmac_f32 v26, s7, v24
	v_fmac_f32_e32 v27, s17, v24
	ds_store_b64 v20, v[26:27]
	s_cbranch_execnz .LBB20_33
.LBB20_32:                              ;   in Loop: Header=BB20_28 Depth=2
	v_add_nc_u32_e32 v24, v11, v4
	s_delay_alu instid0(VALU_DEP_1) | instskip(NEXT) | instid1(VALU_DEP_1)
	v_ashrrev_i32_e32 v25, 31, v24
	v_lshlrev_b64_e32 v[24:25], 3, v[24:25]
	s_wait_kmcnt 0x0
	s_delay_alu instid0(VALU_DEP_1) | instskip(SKIP_1) | instid1(VALU_DEP_2)
	v_add_co_u32 v24, vcc_lo, s24, v24
	s_wait_alu 0xfffd
	v_add_co_ci_u32_e64 v25, null, s25, v25, vcc_lo
	global_load_b64 v[24:25], v[24:25], off
	s_wait_loadcnt 0x0
	v_mul_f32_e64 v26, v25, -s17
	s_delay_alu instid0(VALU_DEP_1) | instskip(NEXT) | instid1(VALU_DEP_1)
	v_dual_mul_f32 v27, s7, v25 :: v_dual_fmac_f32 v26, s7, v24
	v_fmac_f32_e32 v27, s17, v24
	ds_store_b64 v21, v[26:27]
.LBB20_33:                              ;   in Loop: Header=BB20_28 Depth=2
	s_or_b32 exec_lo, exec_lo, s30
                                        ; implicit-def: $vgpr6
	s_and_not1_saveexec_b32 s29, s29
	s_branch .LBB20_35
.LBB20_34:                              ;   in Loop: Header=BB20_28 Depth=2
	s_and_not1_saveexec_b32 s29, s29
.LBB20_35:                              ;   in Loop: Header=BB20_28 Depth=2
	v_min_i32_e32 v2, v6, v2
; %bb.36:                               ;   in Loop: Header=BB20_28 Depth=2
	s_or_b32 exec_lo, exec_lo, s29
	s_mov_b32 s30, -1
                                        ; implicit-def: $vgpr6
	s_and_saveexec_b32 s29, s3
	s_cbranch_execz .LBB20_27
; %bb.37:                               ;   in Loop: Header=BB20_28 Depth=2
	v_dual_mov_b32 v1, v15 :: v_dual_add_nc_u32 v6, 1, v1
	v_add_co_u32 v13, s3, v13, 4
	s_wait_alu 0xfffe
	v_add_nc_u32_e32 v4, s9, v4
	s_delay_alu instid0(VALU_DEP_3)
	v_cmp_ge_i32_e32 vcc_lo, v6, v15
	s_wait_alu 0xf1ff
	v_add_co_ci_u32_e64 v14, null, 0, v14, s3
	s_or_not1_b32 s30, vcc_lo, exec_lo
	s_branch .LBB20_27
.LBB20_38:                              ;   in Loop: Header=BB20_28 Depth=2
	s_branch .LBB20_32
.LBB20_39:                              ;   in Loop: Header=BB20_25 Depth=1
	s_or_b32 exec_lo, exec_lo, s28
	v_mov_b32_e32 v1, v24
.LBB20_40:                              ;   in Loop: Header=BB20_25 Depth=1
	s_wait_alu 0xfffe
	s_or_b32 exec_lo, exec_lo, s18
	s_delay_alu instid0(SALU_CYCLE_1)
	s_mov_b32 s18, exec_lo
	s_wait_loadcnt_dscnt 0x0
	s_barrier_signal -1
	s_barrier_wait -1
	global_inv scope:SCOPE_SE
	v_cmpx_lt_i32_e64 v3, v16
	s_cbranch_execz .LBB20_55
; %bb.41:                               ;   in Loop: Header=BB20_25 Depth=1
	v_mul_lo_u32 v6, s11, v3
	v_ashrrev_i32_e32 v4, 31, v3
	s_mov_b32 s28, 0
	s_delay_alu instid0(VALU_DEP_1) | instskip(NEXT) | instid1(VALU_DEP_3)
	v_lshlrev_b64_e32 v[24:25], 2, v[3:4]
	v_dual_mov_b32 v4, 0 :: v_dual_add_nc_u32 v11, v9, v6
	v_add_nc_u32_e32 v6, v10, v6
	s_delay_alu instid0(VALU_DEP_2) | instskip(NEXT) | instid1(VALU_DEP_2)
	v_mad_co_u64_u32 v[11:12], null, s11, v11, v[10:11]
	v_mad_co_u64_u32 v[12:13], null, s11, v6, v[9:10]
	v_add_co_u32 v13, vcc_lo, s22, v24
	s_wait_alu 0xfffd
	v_add_co_ci_u32_e64 v14, null, s23, v25, vcc_lo
	s_branch .LBB20_43
.LBB20_42:                              ;   in Loop: Header=BB20_43 Depth=2
	s_or_b32 exec_lo, exec_lo, s29
	v_dual_mov_b32 v24, v3 :: v_dual_mov_b32 v3, v6
	s_and_b32 s3, exec_lo, s30
	s_wait_alu 0xfffe
	s_or_b32 s28, s3, s28
	s_delay_alu instid0(SALU_CYCLE_1)
	s_and_not1_b32 exec_lo, exec_lo, s28
	s_cbranch_execz .LBB20_54
.LBB20_43:                              ;   Parent Loop BB20_25 Depth=1
                                        ; =>  This Inner Loop Header: Depth=2
	global_load_b32 v6, v[13:14], off
	s_wait_loadcnt 0x0
	v_subrev_nc_u32_e32 v6, s5, v6
	s_delay_alu instid0(VALU_DEP_1) | instskip(SKIP_1) | instid1(SALU_CYCLE_1)
	v_cmp_le_i32_e64 s3, v6, v23
	s_and_saveexec_b32 s29, s3
	s_xor_b32 s29, exec_lo, s29
	s_cbranch_execz .LBB20_49
; %bb.44:                               ;   in Loop: Header=BB20_43 Depth=2
	ds_store_b32 v18, v0
	s_and_saveexec_b32 s30, s0
	s_cbranch_execz .LBB20_48
; %bb.45:                               ;   in Loop: Header=BB20_43 Depth=2
	s_wait_alu 0xfffe
	s_and_b32 vcc_lo, exec_lo, s8
	s_wait_alu 0xfffe
	s_cbranch_vccz .LBB20_53
; %bb.46:                               ;   in Loop: Header=BB20_43 Depth=2
	v_add_nc_u32_e32 v24, v12, v4
	ds_load_b64 v[26:27], v20
	v_ashrrev_i32_e32 v25, 31, v24
	s_delay_alu instid0(VALU_DEP_1) | instskip(SKIP_1) | instid1(VALU_DEP_1)
	v_lshlrev_b64_e32 v[24:25], 3, v[24:25]
	s_wait_kmcnt 0x0
	v_add_co_u32 v24, vcc_lo, s26, v24
	s_wait_alu 0xfffd
	s_delay_alu instid0(VALU_DEP_2) | instskip(SKIP_4) | instid1(VALU_DEP_2)
	v_add_co_ci_u32_e64 v25, null, s27, v25, vcc_lo
	global_load_b64 v[24:25], v[24:25], off
	s_wait_loadcnt_dscnt 0x0
	v_fma_f32 v6, s16, v24, v26
	v_fmac_f32_e32 v27, s19, v24
	v_fma_f32 v26, -s19, v25, v6
	s_delay_alu instid0(VALU_DEP_2)
	v_fmac_f32_e32 v27, s16, v25
	ds_store_b64 v20, v[26:27]
	s_cbranch_execnz .LBB20_48
.LBB20_47:                              ;   in Loop: Header=BB20_43 Depth=2
	v_add_nc_u32_e32 v24, v11, v4
	ds_load_b64 v[26:27], v21
	v_ashrrev_i32_e32 v25, 31, v24
	s_delay_alu instid0(VALU_DEP_1) | instskip(SKIP_1) | instid1(VALU_DEP_1)
	v_lshlrev_b64_e32 v[24:25], 3, v[24:25]
	s_wait_kmcnt 0x0
	v_add_co_u32 v24, vcc_lo, s26, v24
	s_wait_alu 0xfffd
	s_delay_alu instid0(VALU_DEP_2) | instskip(SKIP_4) | instid1(VALU_DEP_2)
	v_add_co_ci_u32_e64 v25, null, s27, v25, vcc_lo
	global_load_b64 v[24:25], v[24:25], off
	s_wait_loadcnt_dscnt 0x0
	v_fma_f32 v6, s16, v24, v26
	v_fmac_f32_e32 v27, s19, v24
	v_fma_f32 v26, -s19, v25, v6
	s_delay_alu instid0(VALU_DEP_2)
	v_fmac_f32_e32 v27, s16, v25
	ds_store_b64 v21, v[26:27]
.LBB20_48:                              ;   in Loop: Header=BB20_43 Depth=2
	s_or_b32 exec_lo, exec_lo, s30
                                        ; implicit-def: $vgpr6
	s_and_not1_saveexec_b32 s29, s29
	s_branch .LBB20_50
.LBB20_49:                              ;   in Loop: Header=BB20_43 Depth=2
	s_and_not1_saveexec_b32 s29, s29
.LBB20_50:                              ;   in Loop: Header=BB20_43 Depth=2
	v_min_i32_e32 v2, v6, v2
; %bb.51:                               ;   in Loop: Header=BB20_43 Depth=2
	s_or_b32 exec_lo, exec_lo, s29
	s_mov_b32 s30, -1
                                        ; implicit-def: $vgpr6
	s_and_saveexec_b32 s29, s3
	s_cbranch_execz .LBB20_42
; %bb.52:                               ;   in Loop: Header=BB20_43 Depth=2
	v_dual_mov_b32 v3, v16 :: v_dual_add_nc_u32 v6, 1, v3
	v_add_co_u32 v13, s3, v13, 4
	s_wait_alu 0xfffe
	v_add_nc_u32_e32 v4, s9, v4
	s_delay_alu instid0(VALU_DEP_3)
	v_cmp_ge_i32_e32 vcc_lo, v6, v16
	s_wait_alu 0xf1ff
	v_add_co_ci_u32_e64 v14, null, 0, v14, s3
	s_or_not1_b32 s30, vcc_lo, exec_lo
	s_branch .LBB20_42
.LBB20_53:                              ;   in Loop: Header=BB20_43 Depth=2
	s_branch .LBB20_47
.LBB20_54:                              ;   in Loop: Header=BB20_25 Depth=1
	s_or_b32 exec_lo, exec_lo, s28
	v_mov_b32_e32 v3, v24
.LBB20_55:                              ;   in Loop: Header=BB20_25 Depth=1
	s_wait_alu 0xfffe
	s_or_b32 exec_lo, exec_lo, s18
	s_wait_loadcnt_dscnt 0x0
	s_barrier_signal -1
	s_barrier_wait -1
	global_inv scope:SCOPE_SE
	ds_load_b32 v4, v18
	s_mov_b32 s3, exec_lo
	s_wait_dscnt 0x0
	v_cmpx_ne_u32_e32 0, v4
	s_cbranch_execz .LBB20_60
; %bb.56:                               ;   in Loop: Header=BB20_25 Depth=1
	v_ashrrev_i32_e32 v6, 31, v5
	v_add_nc_u32_e32 v4, s6, v23
	s_delay_alu instid0(VALU_DEP_2) | instskip(SKIP_1) | instid1(VALU_DEP_1)
	v_lshlrev_b64_e32 v[11:12], 2, v[5:6]
	s_wait_kmcnt 0x0
	v_add_co_u32 v11, vcc_lo, s12, v11
	s_wait_alu 0xfffd
	s_delay_alu instid0(VALU_DEP_2)
	v_add_co_ci_u32_e64 v12, null, s13, v12, vcc_lo
	global_store_b32 v[11:12], v4, off
	s_and_b32 exec_lo, exec_lo, s0
	s_cbranch_execz .LBB20_60
; %bb.57:                               ;   in Loop: Header=BB20_25 Depth=1
	v_mul_lo_u32 v4, v5, s11
	s_and_b32 vcc_lo, exec_lo, s8
	s_wait_alu 0xfffe
	s_cbranch_vccz .LBB20_64
; %bb.58:                               ;   in Loop: Header=BB20_25 Depth=1
	s_delay_alu instid0(VALU_DEP_1) | instskip(SKIP_2) | instid1(VALU_DEP_1)
	v_add_nc_u32_e32 v6, v4, v10
	ds_load_b64 v[13:14], v20
	v_mad_co_u64_u32 v[11:12], null, v6, s11, v[9:10]
	v_ashrrev_i32_e32 v12, 31, v11
	s_delay_alu instid0(VALU_DEP_1) | instskip(NEXT) | instid1(VALU_DEP_1)
	v_lshlrev_b64_e32 v[11:12], 3, v[11:12]
	v_add_co_u32 v11, vcc_lo, s14, v11
	s_wait_alu 0xfffd
	s_delay_alu instid0(VALU_DEP_2)
	v_add_co_ci_u32_e64 v12, null, s15, v12, vcc_lo
	s_wait_dscnt 0x0
	global_store_b64 v[11:12], v[13:14], off
	s_cbranch_execnz .LBB20_60
.LBB20_59:                              ;   in Loop: Header=BB20_25 Depth=1
	s_delay_alu instid0(VALU_DEP_1) | instskip(SKIP_2) | instid1(VALU_DEP_1)
	v_add_nc_u32_e32 v4, v4, v9
	ds_load_b64 v[13:14], v21
	v_mad_co_u64_u32 v[11:12], null, v4, s11, v[10:11]
	v_ashrrev_i32_e32 v12, 31, v11
	s_delay_alu instid0(VALU_DEP_1) | instskip(NEXT) | instid1(VALU_DEP_1)
	v_lshlrev_b64_e32 v[11:12], 3, v[11:12]
	v_add_co_u32 v11, vcc_lo, s14, v11
	s_wait_alu 0xfffd
	s_delay_alu instid0(VALU_DEP_2)
	v_add_co_ci_u32_e64 v12, null, s15, v12, vcc_lo
	s_wait_dscnt 0x0
	global_store_b64 v[11:12], v[13:14], off
.LBB20_60:                              ;   in Loop: Header=BB20_25 Depth=1
	s_wait_alu 0xfffe
	s_or_b32 exec_lo, exec_lo, s3
	v_cmp_le_i32_e32 vcc_lo, s10, v2
	s_wait_loadcnt 0x0
	s_wait_storecnt 0x0
	s_barrier_signal -1
	s_barrier_wait -1
	global_inv scope:SCOPE_SE
	s_wait_alu 0xfffd
	v_cndmask_b32_e64 v4, 0, 1, vcc_lo
	s_wait_loadcnt 0x0
	s_barrier_signal -1
	s_barrier_wait -1
	global_inv scope:SCOPE_SE
	ds_store_b32 v17, v4
	s_wait_loadcnt_dscnt 0x0
	s_barrier_signal -1
	s_barrier_wait -1
	global_inv scope:SCOPE_SE
	s_and_saveexec_b32 s3, s1
	s_cbranch_execz .LBB20_62
; %bb.61:                               ;   in Loop: Header=BB20_25 Depth=1
	ds_load_2addr_b32 v[11:12], v22 offset1:2
	s_wait_dscnt 0x0
	v_add_nc_u32_e32 v4, v12, v11
	ds_store_b32 v22, v4
.LBB20_62:                              ;   in Loop: Header=BB20_25 Depth=1
	s_wait_alu 0xfffe
	s_or_b32 exec_lo, exec_lo, s3
	s_wait_loadcnt_dscnt 0x0
	s_barrier_signal -1
	s_barrier_wait -1
	global_inv scope:SCOPE_SE
	s_and_saveexec_b32 s3, s2
	s_cbranch_execz .LBB20_24
; %bb.63:                               ;   in Loop: Header=BB20_25 Depth=1
	ds_load_b64 v[11:12], v7 offset:512
	s_wait_dscnt 0x0
	v_add_nc_u32_e32 v4, v12, v11
	ds_store_b32 v7, v4 offset:512
	s_branch .LBB20_24
.LBB20_64:                              ;   in Loop: Header=BB20_25 Depth=1
	s_branch .LBB20_59
.LBB20_65:
	s_endpgm
	.section	.rodata,"a",@progbits
	.p2align	6, 0x0
	.amdhsa_kernel _ZN9rocsparseL35bsrgeam_wf_per_row_multipass_kernelILj64ELj4E21rocsparse_complex_numIfEEEv20rocsparse_direction_iiiNS_24const_host_device_scalarIT1_EEPKiS8_PKS5_S6_S8_S8_SA_S8_PiPS5_21rocsparse_index_base_SD_SD_b
		.amdhsa_group_segment_fixed_size 544
		.amdhsa_private_segment_fixed_size 0
		.amdhsa_kernarg_size 120
		.amdhsa_user_sgpr_count 2
		.amdhsa_user_sgpr_dispatch_ptr 0
		.amdhsa_user_sgpr_queue_ptr 0
		.amdhsa_user_sgpr_kernarg_segment_ptr 1
		.amdhsa_user_sgpr_dispatch_id 0
		.amdhsa_user_sgpr_private_segment_size 0
		.amdhsa_wavefront_size32 1
		.amdhsa_uses_dynamic_stack 0
		.amdhsa_enable_private_segment 0
		.amdhsa_system_sgpr_workgroup_id_x 1
		.amdhsa_system_sgpr_workgroup_id_y 0
		.amdhsa_system_sgpr_workgroup_id_z 0
		.amdhsa_system_sgpr_workgroup_info 0
		.amdhsa_system_vgpr_workitem_id 0
		.amdhsa_next_free_vgpr 28
		.amdhsa_next_free_sgpr 31
		.amdhsa_reserve_vcc 1
		.amdhsa_float_round_mode_32 0
		.amdhsa_float_round_mode_16_64 0
		.amdhsa_float_denorm_mode_32 3
		.amdhsa_float_denorm_mode_16_64 3
		.amdhsa_fp16_overflow 0
		.amdhsa_workgroup_processor_mode 1
		.amdhsa_memory_ordered 1
		.amdhsa_forward_progress 1
		.amdhsa_inst_pref_size 22
		.amdhsa_round_robin_scheduling 0
		.amdhsa_exception_fp_ieee_invalid_op 0
		.amdhsa_exception_fp_denorm_src 0
		.amdhsa_exception_fp_ieee_div_zero 0
		.amdhsa_exception_fp_ieee_overflow 0
		.amdhsa_exception_fp_ieee_underflow 0
		.amdhsa_exception_fp_ieee_inexact 0
		.amdhsa_exception_int_div_zero 0
	.end_amdhsa_kernel
	.section	.text._ZN9rocsparseL35bsrgeam_wf_per_row_multipass_kernelILj64ELj4E21rocsparse_complex_numIfEEEv20rocsparse_direction_iiiNS_24const_host_device_scalarIT1_EEPKiS8_PKS5_S6_S8_S8_SA_S8_PiPS5_21rocsparse_index_base_SD_SD_b,"axG",@progbits,_ZN9rocsparseL35bsrgeam_wf_per_row_multipass_kernelILj64ELj4E21rocsparse_complex_numIfEEEv20rocsparse_direction_iiiNS_24const_host_device_scalarIT1_EEPKiS8_PKS5_S6_S8_S8_SA_S8_PiPS5_21rocsparse_index_base_SD_SD_b,comdat
.Lfunc_end20:
	.size	_ZN9rocsparseL35bsrgeam_wf_per_row_multipass_kernelILj64ELj4E21rocsparse_complex_numIfEEEv20rocsparse_direction_iiiNS_24const_host_device_scalarIT1_EEPKiS8_PKS5_S6_S8_S8_SA_S8_PiPS5_21rocsparse_index_base_SD_SD_b, .Lfunc_end20-_ZN9rocsparseL35bsrgeam_wf_per_row_multipass_kernelILj64ELj4E21rocsparse_complex_numIfEEEv20rocsparse_direction_iiiNS_24const_host_device_scalarIT1_EEPKiS8_PKS5_S6_S8_S8_SA_S8_PiPS5_21rocsparse_index_base_SD_SD_b
                                        ; -- End function
	.set _ZN9rocsparseL35bsrgeam_wf_per_row_multipass_kernelILj64ELj4E21rocsparse_complex_numIfEEEv20rocsparse_direction_iiiNS_24const_host_device_scalarIT1_EEPKiS8_PKS5_S6_S8_S8_SA_S8_PiPS5_21rocsparse_index_base_SD_SD_b.num_vgpr, 28
	.set _ZN9rocsparseL35bsrgeam_wf_per_row_multipass_kernelILj64ELj4E21rocsparse_complex_numIfEEEv20rocsparse_direction_iiiNS_24const_host_device_scalarIT1_EEPKiS8_PKS5_S6_S8_S8_SA_S8_PiPS5_21rocsparse_index_base_SD_SD_b.num_agpr, 0
	.set _ZN9rocsparseL35bsrgeam_wf_per_row_multipass_kernelILj64ELj4E21rocsparse_complex_numIfEEEv20rocsparse_direction_iiiNS_24const_host_device_scalarIT1_EEPKiS8_PKS5_S6_S8_S8_SA_S8_PiPS5_21rocsparse_index_base_SD_SD_b.numbered_sgpr, 31
	.set _ZN9rocsparseL35bsrgeam_wf_per_row_multipass_kernelILj64ELj4E21rocsparse_complex_numIfEEEv20rocsparse_direction_iiiNS_24const_host_device_scalarIT1_EEPKiS8_PKS5_S6_S8_S8_SA_S8_PiPS5_21rocsparse_index_base_SD_SD_b.num_named_barrier, 0
	.set _ZN9rocsparseL35bsrgeam_wf_per_row_multipass_kernelILj64ELj4E21rocsparse_complex_numIfEEEv20rocsparse_direction_iiiNS_24const_host_device_scalarIT1_EEPKiS8_PKS5_S6_S8_S8_SA_S8_PiPS5_21rocsparse_index_base_SD_SD_b.private_seg_size, 0
	.set _ZN9rocsparseL35bsrgeam_wf_per_row_multipass_kernelILj64ELj4E21rocsparse_complex_numIfEEEv20rocsparse_direction_iiiNS_24const_host_device_scalarIT1_EEPKiS8_PKS5_S6_S8_S8_SA_S8_PiPS5_21rocsparse_index_base_SD_SD_b.uses_vcc, 1
	.set _ZN9rocsparseL35bsrgeam_wf_per_row_multipass_kernelILj64ELj4E21rocsparse_complex_numIfEEEv20rocsparse_direction_iiiNS_24const_host_device_scalarIT1_EEPKiS8_PKS5_S6_S8_S8_SA_S8_PiPS5_21rocsparse_index_base_SD_SD_b.uses_flat_scratch, 0
	.set _ZN9rocsparseL35bsrgeam_wf_per_row_multipass_kernelILj64ELj4E21rocsparse_complex_numIfEEEv20rocsparse_direction_iiiNS_24const_host_device_scalarIT1_EEPKiS8_PKS5_S6_S8_S8_SA_S8_PiPS5_21rocsparse_index_base_SD_SD_b.has_dyn_sized_stack, 0
	.set _ZN9rocsparseL35bsrgeam_wf_per_row_multipass_kernelILj64ELj4E21rocsparse_complex_numIfEEEv20rocsparse_direction_iiiNS_24const_host_device_scalarIT1_EEPKiS8_PKS5_S6_S8_S8_SA_S8_PiPS5_21rocsparse_index_base_SD_SD_b.has_recursion, 0
	.set _ZN9rocsparseL35bsrgeam_wf_per_row_multipass_kernelILj64ELj4E21rocsparse_complex_numIfEEEv20rocsparse_direction_iiiNS_24const_host_device_scalarIT1_EEPKiS8_PKS5_S6_S8_S8_SA_S8_PiPS5_21rocsparse_index_base_SD_SD_b.has_indirect_call, 0
	.section	.AMDGPU.csdata,"",@progbits
; Kernel info:
; codeLenInByte = 2716
; TotalNumSgprs: 33
; NumVgprs: 28
; ScratchSize: 0
; MemoryBound: 0
; FloatMode: 240
; IeeeMode: 1
; LDSByteSize: 544 bytes/workgroup (compile time only)
; SGPRBlocks: 0
; VGPRBlocks: 3
; NumSGPRsForWavesPerEU: 33
; NumVGPRsForWavesPerEU: 28
; Occupancy: 16
; WaveLimiterHint : 0
; COMPUTE_PGM_RSRC2:SCRATCH_EN: 0
; COMPUTE_PGM_RSRC2:USER_SGPR: 2
; COMPUTE_PGM_RSRC2:TRAP_HANDLER: 0
; COMPUTE_PGM_RSRC2:TGID_X_EN: 1
; COMPUTE_PGM_RSRC2:TGID_Y_EN: 0
; COMPUTE_PGM_RSRC2:TGID_Z_EN: 0
; COMPUTE_PGM_RSRC2:TIDIG_COMP_CNT: 0
	.section	.text._ZN9rocsparseL35bsrgeam_wf_per_row_multipass_kernelILj64ELj8E21rocsparse_complex_numIfEEEv20rocsparse_direction_iiiNS_24const_host_device_scalarIT1_EEPKiS8_PKS5_S6_S8_S8_SA_S8_PiPS5_21rocsparse_index_base_SD_SD_b,"axG",@progbits,_ZN9rocsparseL35bsrgeam_wf_per_row_multipass_kernelILj64ELj8E21rocsparse_complex_numIfEEEv20rocsparse_direction_iiiNS_24const_host_device_scalarIT1_EEPKiS8_PKS5_S6_S8_S8_SA_S8_PiPS5_21rocsparse_index_base_SD_SD_b,comdat
	.globl	_ZN9rocsparseL35bsrgeam_wf_per_row_multipass_kernelILj64ELj8E21rocsparse_complex_numIfEEEv20rocsparse_direction_iiiNS_24const_host_device_scalarIT1_EEPKiS8_PKS5_S6_S8_S8_SA_S8_PiPS5_21rocsparse_index_base_SD_SD_b ; -- Begin function _ZN9rocsparseL35bsrgeam_wf_per_row_multipass_kernelILj64ELj8E21rocsparse_complex_numIfEEEv20rocsparse_direction_iiiNS_24const_host_device_scalarIT1_EEPKiS8_PKS5_S6_S8_S8_SA_S8_PiPS5_21rocsparse_index_base_SD_SD_b
	.p2align	8
	.type	_ZN9rocsparseL35bsrgeam_wf_per_row_multipass_kernelILj64ELj8E21rocsparse_complex_numIfEEEv20rocsparse_direction_iiiNS_24const_host_device_scalarIT1_EEPKiS8_PKS5_S6_S8_S8_SA_S8_PiPS5_21rocsparse_index_base_SD_SD_b,@function
_ZN9rocsparseL35bsrgeam_wf_per_row_multipass_kernelILj64ELj8E21rocsparse_complex_numIfEEEv20rocsparse_direction_iiiNS_24const_host_device_scalarIT1_EEPKiS8_PKS5_S6_S8_S8_SA_S8_PiPS5_21rocsparse_index_base_SD_SD_b: ; @_ZN9rocsparseL35bsrgeam_wf_per_row_multipass_kernelILj64ELj8E21rocsparse_complex_numIfEEEv20rocsparse_direction_iiiNS_24const_host_device_scalarIT1_EEPKiS8_PKS5_S6_S8_S8_SA_S8_PiPS5_21rocsparse_index_base_SD_SD_b
; %bb.0:
	s_clause 0x2
	s_load_b128 s[4:7], s[0:1], 0x68
	s_load_b64 s[2:3], s[0:1], 0x10
	s_load_b64 s[16:17], s[0:1], 0x30
	s_wait_kmcnt 0x0
	s_bitcmp1_b32 s7, 0
	s_cselect_b32 s7, -1, 0
	s_delay_alu instid0(SALU_CYCLE_1)
	s_xor_b32 s8, s7, -1
	s_and_b32 vcc_lo, exec_lo, s7
	s_mov_b32 s7, s2
	s_cbranch_vccnz .LBB21_4
; %bb.1:
	s_load_b32 s7, s[2:3], 0x0
	v_cndmask_b32_e64 v1, 0, 1, s8
	s_and_not1_b32 vcc_lo, exec_lo, s8
	s_cbranch_vccz .LBB21_5
.LBB21_2:
	s_delay_alu instid0(VALU_DEP_1)
	v_cmp_ne_u32_e32 vcc_lo, 1, v1
	s_mov_b32 s2, s16
	s_cbranch_vccnz .LBB21_6
.LBB21_3:
	s_load_b32 s2, s[16:17], 0x0
	s_load_b64 s[12:13], s[0:1], 0x18
	v_cmp_ne_u32_e32 vcc_lo, 1, v1
	s_cbranch_vccz .LBB21_7
	s_branch .LBB21_8
.LBB21_4:
	v_cndmask_b32_e64 v1, 0, 1, s8
	s_and_not1_b32 vcc_lo, exec_lo, s8
	s_cbranch_vccnz .LBB21_2
.LBB21_5:
	s_load_b32 s3, s[2:3], 0x4
	s_delay_alu instid0(VALU_DEP_1)
	v_cmp_ne_u32_e32 vcc_lo, 1, v1
	s_mov_b32 s2, s16
	s_cbranch_vccz .LBB21_3
.LBB21_6:
	s_load_b64 s[12:13], s[0:1], 0x18
	v_cmp_ne_u32_e32 vcc_lo, 1, v1
	s_cbranch_vccnz .LBB21_8
.LBB21_7:
	s_load_b32 s17, s[16:17], 0x4
.LBB21_8:
	s_load_b128 s[8:11], s[0:1], 0x0
	v_dual_mov_b32 v4, ttmp9 :: v_dual_mov_b32 v15, 0
	v_mov_b32_e32 v1, 0
	s_wait_kmcnt 0x0
	s_cmp_ge_i32 ttmp9, s9
	s_cselect_b32 s16, -1, 0
	s_cmp_lt_i32 ttmp9, s9
	s_cselect_b32 s9, -1, 0
	s_wait_alu 0xfffe
	s_and_saveexec_b32 s14, s9
	s_cbranch_execz .LBB21_10
; %bb.9:
	v_ashrrev_i32_e64 v5, 31, ttmp9
	s_delay_alu instid0(VALU_DEP_1) | instskip(NEXT) | instid1(VALU_DEP_1)
	v_lshlrev_b64_e32 v[1:2], 2, v[4:5]
	v_add_co_u32 v1, vcc_lo, s12, v1
	s_delay_alu instid0(VALU_DEP_1)
	v_add_co_ci_u32_e64 v2, null, s13, v2, vcc_lo
	global_load_b32 v1, v[1:2], off
	s_wait_loadcnt 0x0
	v_subrev_nc_u32_e32 v1, s4, v1
.LBB21_10:
	s_or_b32 exec_lo, exec_lo, s14
	s_load_b64 s[14:15], s[0:1], 0x38
	s_and_saveexec_b32 s18, s9
	s_cbranch_execz .LBB21_12
; %bb.11:
	v_ashrrev_i32_e64 v5, 31, ttmp9
	s_delay_alu instid0(VALU_DEP_1) | instskip(NEXT) | instid1(VALU_DEP_1)
	v_lshlrev_b64_e32 v[2:3], 2, v[4:5]
	v_add_co_u32 v2, vcc_lo, s12, v2
	s_wait_alu 0xfffd
	s_delay_alu instid0(VALU_DEP_2)
	v_add_co_ci_u32_e64 v3, null, s13, v3, vcc_lo
	global_load_b32 v2, v[2:3], off offset:4
	s_wait_loadcnt 0x0
	v_subrev_nc_u32_e32 v15, s4, v2
.LBB21_12:
	s_or_b32 exec_lo, exec_lo, s18
	v_dual_mov_b32 v16, 0 :: v_dual_mov_b32 v3, 0
	s_and_saveexec_b32 s12, s9
	s_cbranch_execz .LBB21_14
; %bb.13:
	v_ashrrev_i32_e64 v5, 31, ttmp9
	s_delay_alu instid0(VALU_DEP_1) | instskip(SKIP_1) | instid1(VALU_DEP_1)
	v_lshlrev_b64_e32 v[2:3], 2, v[4:5]
	s_wait_kmcnt 0x0
	v_add_co_u32 v2, vcc_lo, s14, v2
	s_wait_alu 0xfffd
	s_delay_alu instid0(VALU_DEP_2)
	v_add_co_ci_u32_e64 v3, null, s15, v3, vcc_lo
	global_load_b32 v2, v[2:3], off
	s_wait_loadcnt 0x0
	v_subrev_nc_u32_e32 v3, s5, v2
.LBB21_14:
	s_wait_alu 0xfffe
	s_or_b32 exec_lo, exec_lo, s12
	s_and_saveexec_b32 s12, s9
	s_cbranch_execz .LBB21_16
; %bb.15:
	v_ashrrev_i32_e64 v5, 31, ttmp9
	s_delay_alu instid0(VALU_DEP_1) | instskip(SKIP_1) | instid1(VALU_DEP_1)
	v_lshlrev_b64_e32 v[5:6], 2, v[4:5]
	s_wait_kmcnt 0x0
	v_add_co_u32 v5, vcc_lo, s14, v5
	s_wait_alu 0xfffd
	s_delay_alu instid0(VALU_DEP_2)
	v_add_co_ci_u32_e64 v6, null, s15, v6, vcc_lo
	global_load_b32 v2, v[5:6], off offset:4
	s_wait_loadcnt 0x0
	v_subrev_nc_u32_e32 v16, s5, v2
.LBB21_16:
	s_wait_alu 0xfffe
	s_or_b32 exec_lo, exec_lo, s12
	s_load_b64 s[18:19], s[0:1], 0x20
	v_mov_b32_e32 v5, 0
	s_and_saveexec_b32 s12, s9
	s_cbranch_execz .LBB21_18
; %bb.17:
	s_wait_kmcnt 0x0
	s_load_b64 s[14:15], s[0:1], 0x50
	v_ashrrev_i32_e64 v5, 31, ttmp9
	s_delay_alu instid0(VALU_DEP_1) | instskip(SKIP_1) | instid1(VALU_DEP_1)
	v_lshlrev_b64_e32 v[4:5], 2, v[4:5]
	s_wait_kmcnt 0x0
	v_add_co_u32 v4, vcc_lo, s14, v4
	s_wait_alu 0xfffd
	s_delay_alu instid0(VALU_DEP_2)
	v_add_co_ci_u32_e64 v5, null, s15, v5, vcc_lo
	global_load_b32 v2, v[4:5], off
	s_wait_loadcnt 0x0
	v_subrev_nc_u32_e32 v5, s6, v2
.LBB21_18:
	s_wait_alu 0xfffe
	s_or_b32 exec_lo, exec_lo, s12
	s_load_b64 s[20:21], s[0:1], 0x40
	v_mov_b32_e32 v2, s10
	s_mov_b32 s9, exec_lo
	v_cmpx_lt_i32_e64 v1, v15
	s_cbranch_execz .LBB21_20
; %bb.19:
	v_ashrrev_i32_e32 v2, 31, v1
	s_delay_alu instid0(VALU_DEP_1) | instskip(SKIP_1) | instid1(VALU_DEP_1)
	v_lshlrev_b64_e32 v[6:7], 2, v[1:2]
	s_wait_kmcnt 0x0
	v_add_co_u32 v6, vcc_lo, s18, v6
	s_wait_alu 0xfffd
	s_delay_alu instid0(VALU_DEP_2)
	v_add_co_ci_u32_e64 v7, null, s19, v7, vcc_lo
	global_load_b32 v2, v[6:7], off
	s_wait_loadcnt 0x0
	v_subrev_nc_u32_e32 v2, s4, v2
.LBB21_20:
	s_wait_alu 0xfffe
	s_or_b32 exec_lo, exec_lo, s9
	v_mov_b32_e32 v4, s10
	s_mov_b32 s9, exec_lo
	v_cmpx_lt_i32_e64 v3, v16
	s_cbranch_execz .LBB21_22
; %bb.21:
	v_ashrrev_i32_e32 v4, 31, v3
	s_delay_alu instid0(VALU_DEP_1) | instskip(SKIP_1) | instid1(VALU_DEP_1)
	v_lshlrev_b64_e32 v[6:7], 2, v[3:4]
	s_wait_kmcnt 0x0
	v_add_co_u32 v6, vcc_lo, s20, v6
	s_wait_alu 0xfffd
	s_delay_alu instid0(VALU_DEP_2)
	v_add_co_ci_u32_e64 v7, null, s21, v7, vcc_lo
	global_load_b32 v4, v[6:7], off
	s_wait_loadcnt 0x0
	v_subrev_nc_u32_e32 v4, s5, v4
.LBB21_22:
	s_wait_alu 0xfffe
	s_or_b32 exec_lo, exec_lo, s9
	v_cndmask_b32_e64 v6, 0, 1, s16
	v_mov_b32_e32 v7, 0
	ds_store_b32 v7, v6 offset:512
	s_wait_dscnt 0x0
	s_barrier_signal -1
	s_barrier_wait -1
	global_inv scope:SCOPE_SE
	ds_load_b32 v6, v7 offset:512
	s_wait_dscnt 0x0
	v_cmp_ne_u32_e32 vcc_lo, 0, v6
	s_cbranch_vccz .LBB21_24
.LBB21_23:
	s_endpgm
.LBB21_24:
	s_wait_kmcnt 0x0
	s_clause 0x2
	s_load_b128 s[12:15], s[0:1], 0x58
	s_load_b64 s[22:23], s[0:1], 0x28
	s_load_b64 s[24:25], s[0:1], 0x48
	v_dual_mov_b32 v18, 0x204 :: v_dual_and_b32 v9, 7, v0
	v_lshrrev_b32_e32 v10, 3, v0
	v_mov_b32_e32 v17, 0x200
	v_min_i32_e32 v2, v4, v2
	s_delay_alu instid0(VALU_DEP_4) | instskip(SKIP_3) | instid1(VALU_DEP_4)
	v_lshlrev_b32_e32 v6, 3, v9
	v_dual_mov_b32 v21, 1 :: v_dual_and_b32 v8, 56, v0
	v_max_i32_e32 v4, v10, v9
	v_lshlrev_b32_e32 v0, 3, v0
	v_lshl_or_b32 v19, v10, 6, v6
	s_delay_alu instid0(VALU_DEP_4)
	v_lshl_or_b32 v20, v9, 6, v8
	v_mov_b32_e32 v8, v7
	v_cmp_gt_i32_e64 s0, s11, v4
	s_cmp_lg_u32 s8, 0
	s_mul_i32 s9, s11, s11
	s_cselect_b32 s8, -1, 0
	s_branch .LBB21_27
.LBB21_25:                              ;   in Loop: Header=BB21_27 Depth=1
	s_delay_alu instid0(VALU_DEP_1) | instskip(SKIP_2) | instid1(VALU_DEP_1)
	v_add_nc_u32_e32 v4, v4, v9
	ds_load_b64 v[13:14], v20
	v_mad_co_u64_u32 v[11:12], null, v4, s11, v[10:11]
	v_ashrrev_i32_e32 v12, 31, v11
	s_delay_alu instid0(VALU_DEP_1) | instskip(NEXT) | instid1(VALU_DEP_1)
	v_lshlrev_b64_e32 v[11:12], 3, v[11:12]
	v_add_co_u32 v11, vcc_lo, s14, v11
	s_wait_alu 0xfffd
	s_delay_alu instid0(VALU_DEP_2)
	v_add_co_ci_u32_e64 v12, null, s15, v12, vcc_lo
	s_wait_dscnt 0x0
	global_store_b64 v[11:12], v[13:14], off
.LBB21_26:                              ;   in Loop: Header=BB21_27 Depth=1
	s_wait_alu 0xfffe
	s_or_b32 exec_lo, exec_lo, s1
	v_cmp_le_i32_e32 vcc_lo, s10, v2
	s_wait_loadcnt 0x0
	s_wait_storecnt 0x0
	s_barrier_signal -1
	s_barrier_wait -1
	global_inv scope:SCOPE_SE
	s_wait_alu 0xfffd
	v_cndmask_b32_e64 v4, 0, 1, vcc_lo
	s_wait_loadcnt 0x0
	s_barrier_signal -1
	s_barrier_wait -1
	global_inv scope:SCOPE_SE
	ds_store_b32 v17, v4
	s_wait_loadcnt_dscnt 0x0
	s_barrier_signal -1
	s_barrier_wait -1
	global_inv scope:SCOPE_SE
	ds_load_b32 v4, v7 offset:512
	v_add_nc_u32_e32 v5, 1, v5
	s_wait_dscnt 0x0
	v_cmp_eq_u32_e32 vcc_lo, 0, v4
	s_cbranch_vccz .LBB21_23
.LBB21_27:                              ; =>This Loop Header: Depth=1
                                        ;     Child Loop BB21_30 Depth 2
                                        ;     Child Loop BB21_45 Depth 2
	v_mov_b32_e32 v22, v2
	v_mov_b32_e32 v2, s10
	s_mov_b32 s16, exec_lo
	ds_store_b32 v18, v7
	ds_store_b64 v0, v[7:8]
	s_wait_loadcnt_dscnt 0x0
	s_barrier_signal -1
	s_barrier_wait -1
	global_inv scope:SCOPE_SE
	v_cmpx_lt_i32_e64 v1, v15
	s_cbranch_execz .LBB21_42
; %bb.28:                               ;   in Loop: Header=BB21_27 Depth=1
	v_mul_lo_u32 v4, s11, v1
	v_ashrrev_i32_e32 v2, 31, v1
	s_mov_b32 s26, 0
	s_delay_alu instid0(VALU_DEP_1) | instskip(SKIP_1) | instid1(VALU_DEP_4)
	v_lshlrev_b64_e32 v[23:24], 2, v[1:2]
	v_mov_b32_e32 v2, s10
	v_add_nc_u32_e32 v6, v9, v4
	v_add_nc_u32_e32 v4, v10, v4
	s_delay_alu instid0(VALU_DEP_2) | instskip(NEXT) | instid1(VALU_DEP_2)
	v_mad_co_u64_u32 v[11:12], null, s11, v6, v[10:11]
	v_mad_co_u64_u32 v[12:13], null, s11, v4, v[9:10]
	v_add_co_u32 v13, vcc_lo, s18, v23
	s_wait_alu 0xfffd
	v_add_co_ci_u32_e64 v14, null, s19, v24, vcc_lo
	v_mov_b32_e32 v4, 0
	s_branch .LBB21_30
.LBB21_29:                              ;   in Loop: Header=BB21_30 Depth=2
	s_or_b32 exec_lo, exec_lo, s27
	v_mov_b32_e32 v23, v1
	v_mov_b32_e32 v1, v6
	s_and_b32 s1, exec_lo, s28
	s_wait_alu 0xfffe
	s_or_b32 s26, s1, s26
	s_delay_alu instid0(SALU_CYCLE_1)
	s_and_not1_b32 exec_lo, exec_lo, s26
	s_cbranch_execz .LBB21_41
.LBB21_30:                              ;   Parent Loop BB21_27 Depth=1
                                        ; =>  This Inner Loop Header: Depth=2
	global_load_b32 v6, v[13:14], off
	s_wait_loadcnt 0x0
	v_subrev_nc_u32_e32 v6, s4, v6
	s_delay_alu instid0(VALU_DEP_1) | instskip(SKIP_1) | instid1(SALU_CYCLE_1)
	v_cmp_le_i32_e64 s1, v6, v22
	s_and_saveexec_b32 s27, s1
	s_xor_b32 s27, exec_lo, s27
	s_cbranch_execz .LBB21_36
; %bb.31:                               ;   in Loop: Header=BB21_30 Depth=2
	ds_store_b32 v18, v21
	s_and_saveexec_b32 s28, s0
	s_cbranch_execz .LBB21_35
; %bb.32:                               ;   in Loop: Header=BB21_30 Depth=2
	s_wait_alu 0xfffe
	s_and_b32 vcc_lo, exec_lo, s8
	s_wait_alu 0xfffe
	s_cbranch_vccz .LBB21_40
; %bb.33:                               ;   in Loop: Header=BB21_30 Depth=2
	v_add_nc_u32_e32 v23, v12, v4
	s_delay_alu instid0(VALU_DEP_1) | instskip(NEXT) | instid1(VALU_DEP_1)
	v_ashrrev_i32_e32 v24, 31, v23
	v_lshlrev_b64_e32 v[23:24], 3, v[23:24]
	s_wait_kmcnt 0x0
	s_delay_alu instid0(VALU_DEP_1) | instskip(SKIP_1) | instid1(VALU_DEP_2)
	v_add_co_u32 v23, vcc_lo, s22, v23
	s_wait_alu 0xfffd
	v_add_co_ci_u32_e64 v24, null, s23, v24, vcc_lo
	global_load_b64 v[23:24], v[23:24], off
	s_wait_loadcnt 0x0
	v_mul_f32_e64 v25, v24, -s3
	s_delay_alu instid0(VALU_DEP_1) | instskip(NEXT) | instid1(VALU_DEP_1)
	v_dual_mul_f32 v26, s7, v24 :: v_dual_fmac_f32 v25, s7, v23
	v_fmac_f32_e32 v26, s3, v23
	ds_store_b64 v19, v[25:26]
	s_cbranch_execnz .LBB21_35
.LBB21_34:                              ;   in Loop: Header=BB21_30 Depth=2
	v_add_nc_u32_e32 v23, v11, v4
	s_delay_alu instid0(VALU_DEP_1) | instskip(NEXT) | instid1(VALU_DEP_1)
	v_ashrrev_i32_e32 v24, 31, v23
	v_lshlrev_b64_e32 v[23:24], 3, v[23:24]
	s_wait_kmcnt 0x0
	s_delay_alu instid0(VALU_DEP_1) | instskip(SKIP_1) | instid1(VALU_DEP_2)
	v_add_co_u32 v23, vcc_lo, s22, v23
	s_wait_alu 0xfffd
	v_add_co_ci_u32_e64 v24, null, s23, v24, vcc_lo
	global_load_b64 v[23:24], v[23:24], off
	s_wait_loadcnt 0x0
	v_mul_f32_e64 v25, v24, -s3
	s_delay_alu instid0(VALU_DEP_1) | instskip(NEXT) | instid1(VALU_DEP_1)
	v_dual_mul_f32 v26, s7, v24 :: v_dual_fmac_f32 v25, s7, v23
	v_fmac_f32_e32 v26, s3, v23
	ds_store_b64 v20, v[25:26]
.LBB21_35:                              ;   in Loop: Header=BB21_30 Depth=2
	s_or_b32 exec_lo, exec_lo, s28
                                        ; implicit-def: $vgpr6
	s_and_not1_saveexec_b32 s27, s27
	s_branch .LBB21_37
.LBB21_36:                              ;   in Loop: Header=BB21_30 Depth=2
	s_and_not1_saveexec_b32 s27, s27
.LBB21_37:                              ;   in Loop: Header=BB21_30 Depth=2
	v_min_i32_e32 v2, v6, v2
; %bb.38:                               ;   in Loop: Header=BB21_30 Depth=2
	s_or_b32 exec_lo, exec_lo, s27
	s_mov_b32 s28, -1
                                        ; implicit-def: $vgpr6
	s_and_saveexec_b32 s27, s1
	s_cbranch_execz .LBB21_29
; %bb.39:                               ;   in Loop: Header=BB21_30 Depth=2
	v_dual_mov_b32 v1, v15 :: v_dual_add_nc_u32 v6, 1, v1
	v_add_co_u32 v13, s1, v13, 4
	s_wait_alu 0xfffe
	v_add_nc_u32_e32 v4, s9, v4
	s_delay_alu instid0(VALU_DEP_3)
	v_cmp_ge_i32_e32 vcc_lo, v6, v15
	s_wait_alu 0xf1ff
	v_add_co_ci_u32_e64 v14, null, 0, v14, s1
	s_or_not1_b32 s28, vcc_lo, exec_lo
	s_branch .LBB21_29
.LBB21_40:                              ;   in Loop: Header=BB21_30 Depth=2
	s_branch .LBB21_34
.LBB21_41:                              ;   in Loop: Header=BB21_27 Depth=1
	s_or_b32 exec_lo, exec_lo, s26
	v_mov_b32_e32 v1, v23
.LBB21_42:                              ;   in Loop: Header=BB21_27 Depth=1
	s_wait_alu 0xfffe
	s_or_b32 exec_lo, exec_lo, s16
	s_delay_alu instid0(SALU_CYCLE_1)
	s_mov_b32 s16, exec_lo
	s_wait_loadcnt_dscnt 0x0
	s_barrier_signal -1
	s_barrier_wait -1
	global_inv scope:SCOPE_SE
	v_cmpx_lt_i32_e64 v3, v16
	s_cbranch_execz .LBB21_57
; %bb.43:                               ;   in Loop: Header=BB21_27 Depth=1
	v_mul_lo_u32 v6, s11, v3
	v_ashrrev_i32_e32 v4, 31, v3
	s_mov_b32 s26, 0
	s_delay_alu instid0(VALU_DEP_1) | instskip(NEXT) | instid1(VALU_DEP_3)
	v_lshlrev_b64_e32 v[23:24], 2, v[3:4]
	v_dual_mov_b32 v4, 0 :: v_dual_add_nc_u32 v11, v9, v6
	v_add_nc_u32_e32 v6, v10, v6
	s_delay_alu instid0(VALU_DEP_2) | instskip(NEXT) | instid1(VALU_DEP_2)
	v_mad_co_u64_u32 v[11:12], null, s11, v11, v[10:11]
	v_mad_co_u64_u32 v[12:13], null, s11, v6, v[9:10]
	v_add_co_u32 v13, vcc_lo, s20, v23
	s_wait_alu 0xfffd
	v_add_co_ci_u32_e64 v14, null, s21, v24, vcc_lo
	s_branch .LBB21_45
.LBB21_44:                              ;   in Loop: Header=BB21_45 Depth=2
	s_or_b32 exec_lo, exec_lo, s27
	v_mov_b32_e32 v23, v3
	v_mov_b32_e32 v3, v6
	s_and_b32 s1, exec_lo, s28
	s_wait_alu 0xfffe
	s_or_b32 s26, s1, s26
	s_delay_alu instid0(SALU_CYCLE_1)
	s_and_not1_b32 exec_lo, exec_lo, s26
	s_cbranch_execz .LBB21_56
.LBB21_45:                              ;   Parent Loop BB21_27 Depth=1
                                        ; =>  This Inner Loop Header: Depth=2
	global_load_b32 v6, v[13:14], off
	s_wait_loadcnt 0x0
	v_subrev_nc_u32_e32 v6, s5, v6
	s_delay_alu instid0(VALU_DEP_1) | instskip(SKIP_1) | instid1(SALU_CYCLE_1)
	v_cmp_le_i32_e64 s1, v6, v22
	s_and_saveexec_b32 s27, s1
	s_xor_b32 s27, exec_lo, s27
	s_cbranch_execz .LBB21_51
; %bb.46:                               ;   in Loop: Header=BB21_45 Depth=2
	ds_store_b32 v18, v21
	s_and_saveexec_b32 s28, s0
	s_cbranch_execz .LBB21_50
; %bb.47:                               ;   in Loop: Header=BB21_45 Depth=2
	s_and_b32 vcc_lo, exec_lo, s8
	s_wait_alu 0xfffe
	s_cbranch_vccz .LBB21_55
; %bb.48:                               ;   in Loop: Header=BB21_45 Depth=2
	v_add_nc_u32_e32 v23, v12, v4
	ds_load_b64 v[25:26], v19
	v_ashrrev_i32_e32 v24, 31, v23
	s_delay_alu instid0(VALU_DEP_1) | instskip(SKIP_1) | instid1(VALU_DEP_1)
	v_lshlrev_b64_e32 v[23:24], 3, v[23:24]
	s_wait_kmcnt 0x0
	v_add_co_u32 v23, vcc_lo, s24, v23
	s_wait_alu 0xfffd
	s_delay_alu instid0(VALU_DEP_2) | instskip(SKIP_4) | instid1(VALU_DEP_2)
	v_add_co_ci_u32_e64 v24, null, s25, v24, vcc_lo
	global_load_b64 v[23:24], v[23:24], off
	s_wait_loadcnt_dscnt 0x0
	v_fma_f32 v6, s2, v23, v25
	v_fmac_f32_e32 v26, s17, v23
	v_fma_f32 v25, -s17, v24, v6
	s_delay_alu instid0(VALU_DEP_2)
	v_fmac_f32_e32 v26, s2, v24
	ds_store_b64 v19, v[25:26]
	s_cbranch_execnz .LBB21_50
.LBB21_49:                              ;   in Loop: Header=BB21_45 Depth=2
	v_add_nc_u32_e32 v23, v11, v4
	ds_load_b64 v[25:26], v20
	v_ashrrev_i32_e32 v24, 31, v23
	s_delay_alu instid0(VALU_DEP_1) | instskip(SKIP_1) | instid1(VALU_DEP_1)
	v_lshlrev_b64_e32 v[23:24], 3, v[23:24]
	s_wait_kmcnt 0x0
	v_add_co_u32 v23, vcc_lo, s24, v23
	s_wait_alu 0xfffd
	s_delay_alu instid0(VALU_DEP_2) | instskip(SKIP_4) | instid1(VALU_DEP_2)
	v_add_co_ci_u32_e64 v24, null, s25, v24, vcc_lo
	global_load_b64 v[23:24], v[23:24], off
	s_wait_loadcnt_dscnt 0x0
	v_fma_f32 v6, s2, v23, v25
	v_fmac_f32_e32 v26, s17, v23
	v_fma_f32 v25, -s17, v24, v6
	s_delay_alu instid0(VALU_DEP_2)
	v_fmac_f32_e32 v26, s2, v24
	ds_store_b64 v20, v[25:26]
.LBB21_50:                              ;   in Loop: Header=BB21_45 Depth=2
	s_or_b32 exec_lo, exec_lo, s28
                                        ; implicit-def: $vgpr6
	s_and_not1_saveexec_b32 s27, s27
	s_branch .LBB21_52
.LBB21_51:                              ;   in Loop: Header=BB21_45 Depth=2
	s_and_not1_saveexec_b32 s27, s27
.LBB21_52:                              ;   in Loop: Header=BB21_45 Depth=2
	v_min_i32_e32 v2, v6, v2
; %bb.53:                               ;   in Loop: Header=BB21_45 Depth=2
	s_or_b32 exec_lo, exec_lo, s27
	s_mov_b32 s28, -1
                                        ; implicit-def: $vgpr6
	s_and_saveexec_b32 s27, s1
	s_cbranch_execz .LBB21_44
; %bb.54:                               ;   in Loop: Header=BB21_45 Depth=2
	v_dual_mov_b32 v3, v16 :: v_dual_add_nc_u32 v6, 1, v3
	v_add_co_u32 v13, s1, v13, 4
	v_add_nc_u32_e32 v4, s9, v4
	s_delay_alu instid0(VALU_DEP_3)
	v_cmp_ge_i32_e32 vcc_lo, v6, v16
	s_wait_alu 0xf1ff
	v_add_co_ci_u32_e64 v14, null, 0, v14, s1
	s_or_not1_b32 s28, vcc_lo, exec_lo
	s_branch .LBB21_44
.LBB21_55:                              ;   in Loop: Header=BB21_45 Depth=2
	s_branch .LBB21_49
.LBB21_56:                              ;   in Loop: Header=BB21_27 Depth=1
	s_or_b32 exec_lo, exec_lo, s26
	v_mov_b32_e32 v3, v23
.LBB21_57:                              ;   in Loop: Header=BB21_27 Depth=1
	s_wait_alu 0xfffe
	s_or_b32 exec_lo, exec_lo, s16
	s_wait_loadcnt_dscnt 0x0
	s_barrier_signal -1
	s_barrier_wait -1
	global_inv scope:SCOPE_SE
	ds_load_b32 v4, v18
	s_mov_b32 s1, exec_lo
	s_wait_dscnt 0x0
	v_cmpx_ne_u32_e32 0, v4
	s_cbranch_execz .LBB21_26
; %bb.58:                               ;   in Loop: Header=BB21_27 Depth=1
	v_ashrrev_i32_e32 v6, 31, v5
	v_add_nc_u32_e32 v4, s6, v22
	s_delay_alu instid0(VALU_DEP_2) | instskip(SKIP_1) | instid1(VALU_DEP_1)
	v_lshlrev_b64_e32 v[11:12], 2, v[5:6]
	s_wait_kmcnt 0x0
	v_add_co_u32 v11, vcc_lo, s12, v11
	s_wait_alu 0xfffd
	s_delay_alu instid0(VALU_DEP_2)
	v_add_co_ci_u32_e64 v12, null, s13, v12, vcc_lo
	global_store_b32 v[11:12], v4, off
	s_and_b32 exec_lo, exec_lo, s0
	s_cbranch_execz .LBB21_26
; %bb.59:                               ;   in Loop: Header=BB21_27 Depth=1
	v_mul_lo_u32 v4, v5, s11
	s_and_b32 vcc_lo, exec_lo, s8
	s_wait_alu 0xfffe
	s_cbranch_vccz .LBB21_61
; %bb.60:                               ;   in Loop: Header=BB21_27 Depth=1
	s_delay_alu instid0(VALU_DEP_1) | instskip(SKIP_2) | instid1(VALU_DEP_1)
	v_add_nc_u32_e32 v6, v4, v10
	ds_load_b64 v[13:14], v19
	v_mad_co_u64_u32 v[11:12], null, v6, s11, v[9:10]
	v_ashrrev_i32_e32 v12, 31, v11
	s_delay_alu instid0(VALU_DEP_1) | instskip(NEXT) | instid1(VALU_DEP_1)
	v_lshlrev_b64_e32 v[11:12], 3, v[11:12]
	v_add_co_u32 v11, vcc_lo, s14, v11
	s_wait_alu 0xfffd
	s_delay_alu instid0(VALU_DEP_2)
	v_add_co_ci_u32_e64 v12, null, s15, v12, vcc_lo
	s_wait_dscnt 0x0
	global_store_b64 v[11:12], v[13:14], off
	s_cbranch_execnz .LBB21_26
	s_branch .LBB21_25
.LBB21_61:                              ;   in Loop: Header=BB21_27 Depth=1
	s_branch .LBB21_25
	.section	.rodata,"a",@progbits
	.p2align	6, 0x0
	.amdhsa_kernel _ZN9rocsparseL35bsrgeam_wf_per_row_multipass_kernelILj64ELj8E21rocsparse_complex_numIfEEEv20rocsparse_direction_iiiNS_24const_host_device_scalarIT1_EEPKiS8_PKS5_S6_S8_S8_SA_S8_PiPS5_21rocsparse_index_base_SD_SD_b
		.amdhsa_group_segment_fixed_size 520
		.amdhsa_private_segment_fixed_size 0
		.amdhsa_kernarg_size 120
		.amdhsa_user_sgpr_count 2
		.amdhsa_user_sgpr_dispatch_ptr 0
		.amdhsa_user_sgpr_queue_ptr 0
		.amdhsa_user_sgpr_kernarg_segment_ptr 1
		.amdhsa_user_sgpr_dispatch_id 0
		.amdhsa_user_sgpr_private_segment_size 0
		.amdhsa_wavefront_size32 1
		.amdhsa_uses_dynamic_stack 0
		.amdhsa_enable_private_segment 0
		.amdhsa_system_sgpr_workgroup_id_x 1
		.amdhsa_system_sgpr_workgroup_id_y 0
		.amdhsa_system_sgpr_workgroup_id_z 0
		.amdhsa_system_sgpr_workgroup_info 0
		.amdhsa_system_vgpr_workitem_id 0
		.amdhsa_next_free_vgpr 27
		.amdhsa_next_free_sgpr 29
		.amdhsa_reserve_vcc 1
		.amdhsa_float_round_mode_32 0
		.amdhsa_float_round_mode_16_64 0
		.amdhsa_float_denorm_mode_32 3
		.amdhsa_float_denorm_mode_16_64 3
		.amdhsa_fp16_overflow 0
		.amdhsa_workgroup_processor_mode 1
		.amdhsa_memory_ordered 1
		.amdhsa_forward_progress 1
		.amdhsa_inst_pref_size 21
		.amdhsa_round_robin_scheduling 0
		.amdhsa_exception_fp_ieee_invalid_op 0
		.amdhsa_exception_fp_denorm_src 0
		.amdhsa_exception_fp_ieee_div_zero 0
		.amdhsa_exception_fp_ieee_overflow 0
		.amdhsa_exception_fp_ieee_underflow 0
		.amdhsa_exception_fp_ieee_inexact 0
		.amdhsa_exception_int_div_zero 0
	.end_amdhsa_kernel
	.section	.text._ZN9rocsparseL35bsrgeam_wf_per_row_multipass_kernelILj64ELj8E21rocsparse_complex_numIfEEEv20rocsparse_direction_iiiNS_24const_host_device_scalarIT1_EEPKiS8_PKS5_S6_S8_S8_SA_S8_PiPS5_21rocsparse_index_base_SD_SD_b,"axG",@progbits,_ZN9rocsparseL35bsrgeam_wf_per_row_multipass_kernelILj64ELj8E21rocsparse_complex_numIfEEEv20rocsparse_direction_iiiNS_24const_host_device_scalarIT1_EEPKiS8_PKS5_S6_S8_S8_SA_S8_PiPS5_21rocsparse_index_base_SD_SD_b,comdat
.Lfunc_end21:
	.size	_ZN9rocsparseL35bsrgeam_wf_per_row_multipass_kernelILj64ELj8E21rocsparse_complex_numIfEEEv20rocsparse_direction_iiiNS_24const_host_device_scalarIT1_EEPKiS8_PKS5_S6_S8_S8_SA_S8_PiPS5_21rocsparse_index_base_SD_SD_b, .Lfunc_end21-_ZN9rocsparseL35bsrgeam_wf_per_row_multipass_kernelILj64ELj8E21rocsparse_complex_numIfEEEv20rocsparse_direction_iiiNS_24const_host_device_scalarIT1_EEPKiS8_PKS5_S6_S8_S8_SA_S8_PiPS5_21rocsparse_index_base_SD_SD_b
                                        ; -- End function
	.set _ZN9rocsparseL35bsrgeam_wf_per_row_multipass_kernelILj64ELj8E21rocsparse_complex_numIfEEEv20rocsparse_direction_iiiNS_24const_host_device_scalarIT1_EEPKiS8_PKS5_S6_S8_S8_SA_S8_PiPS5_21rocsparse_index_base_SD_SD_b.num_vgpr, 27
	.set _ZN9rocsparseL35bsrgeam_wf_per_row_multipass_kernelILj64ELj8E21rocsparse_complex_numIfEEEv20rocsparse_direction_iiiNS_24const_host_device_scalarIT1_EEPKiS8_PKS5_S6_S8_S8_SA_S8_PiPS5_21rocsparse_index_base_SD_SD_b.num_agpr, 0
	.set _ZN9rocsparseL35bsrgeam_wf_per_row_multipass_kernelILj64ELj8E21rocsparse_complex_numIfEEEv20rocsparse_direction_iiiNS_24const_host_device_scalarIT1_EEPKiS8_PKS5_S6_S8_S8_SA_S8_PiPS5_21rocsparse_index_base_SD_SD_b.numbered_sgpr, 29
	.set _ZN9rocsparseL35bsrgeam_wf_per_row_multipass_kernelILj64ELj8E21rocsparse_complex_numIfEEEv20rocsparse_direction_iiiNS_24const_host_device_scalarIT1_EEPKiS8_PKS5_S6_S8_S8_SA_S8_PiPS5_21rocsparse_index_base_SD_SD_b.num_named_barrier, 0
	.set _ZN9rocsparseL35bsrgeam_wf_per_row_multipass_kernelILj64ELj8E21rocsparse_complex_numIfEEEv20rocsparse_direction_iiiNS_24const_host_device_scalarIT1_EEPKiS8_PKS5_S6_S8_S8_SA_S8_PiPS5_21rocsparse_index_base_SD_SD_b.private_seg_size, 0
	.set _ZN9rocsparseL35bsrgeam_wf_per_row_multipass_kernelILj64ELj8E21rocsparse_complex_numIfEEEv20rocsparse_direction_iiiNS_24const_host_device_scalarIT1_EEPKiS8_PKS5_S6_S8_S8_SA_S8_PiPS5_21rocsparse_index_base_SD_SD_b.uses_vcc, 1
	.set _ZN9rocsparseL35bsrgeam_wf_per_row_multipass_kernelILj64ELj8E21rocsparse_complex_numIfEEEv20rocsparse_direction_iiiNS_24const_host_device_scalarIT1_EEPKiS8_PKS5_S6_S8_S8_SA_S8_PiPS5_21rocsparse_index_base_SD_SD_b.uses_flat_scratch, 0
	.set _ZN9rocsparseL35bsrgeam_wf_per_row_multipass_kernelILj64ELj8E21rocsparse_complex_numIfEEEv20rocsparse_direction_iiiNS_24const_host_device_scalarIT1_EEPKiS8_PKS5_S6_S8_S8_SA_S8_PiPS5_21rocsparse_index_base_SD_SD_b.has_dyn_sized_stack, 0
	.set _ZN9rocsparseL35bsrgeam_wf_per_row_multipass_kernelILj64ELj8E21rocsparse_complex_numIfEEEv20rocsparse_direction_iiiNS_24const_host_device_scalarIT1_EEPKiS8_PKS5_S6_S8_S8_SA_S8_PiPS5_21rocsparse_index_base_SD_SD_b.has_recursion, 0
	.set _ZN9rocsparseL35bsrgeam_wf_per_row_multipass_kernelILj64ELj8E21rocsparse_complex_numIfEEEv20rocsparse_direction_iiiNS_24const_host_device_scalarIT1_EEPKiS8_PKS5_S6_S8_S8_SA_S8_PiPS5_21rocsparse_index_base_SD_SD_b.has_indirect_call, 0
	.section	.AMDGPU.csdata,"",@progbits
; Kernel info:
; codeLenInByte = 2572
; TotalNumSgprs: 31
; NumVgprs: 27
; ScratchSize: 0
; MemoryBound: 0
; FloatMode: 240
; IeeeMode: 1
; LDSByteSize: 520 bytes/workgroup (compile time only)
; SGPRBlocks: 0
; VGPRBlocks: 3
; NumSGPRsForWavesPerEU: 31
; NumVGPRsForWavesPerEU: 27
; Occupancy: 16
; WaveLimiterHint : 0
; COMPUTE_PGM_RSRC2:SCRATCH_EN: 0
; COMPUTE_PGM_RSRC2:USER_SGPR: 2
; COMPUTE_PGM_RSRC2:TRAP_HANDLER: 0
; COMPUTE_PGM_RSRC2:TGID_X_EN: 1
; COMPUTE_PGM_RSRC2:TGID_Y_EN: 0
; COMPUTE_PGM_RSRC2:TGID_Z_EN: 0
; COMPUTE_PGM_RSRC2:TIDIG_COMP_CNT: 0
	.section	.text._ZN9rocsparseL39bsrgeam_block_per_row_multipass_kernel2ILj256ELj16E21rocsparse_complex_numIfEEEv20rocsparse_direction_iiiNS_24const_host_device_scalarIT1_EEPKiS8_PKS5_S6_S8_S8_SA_S8_PiPS5_21rocsparse_index_base_SD_SD_b,"axG",@progbits,_ZN9rocsparseL39bsrgeam_block_per_row_multipass_kernel2ILj256ELj16E21rocsparse_complex_numIfEEEv20rocsparse_direction_iiiNS_24const_host_device_scalarIT1_EEPKiS8_PKS5_S6_S8_S8_SA_S8_PiPS5_21rocsparse_index_base_SD_SD_b,comdat
	.globl	_ZN9rocsparseL39bsrgeam_block_per_row_multipass_kernel2ILj256ELj16E21rocsparse_complex_numIfEEEv20rocsparse_direction_iiiNS_24const_host_device_scalarIT1_EEPKiS8_PKS5_S6_S8_S8_SA_S8_PiPS5_21rocsparse_index_base_SD_SD_b ; -- Begin function _ZN9rocsparseL39bsrgeam_block_per_row_multipass_kernel2ILj256ELj16E21rocsparse_complex_numIfEEEv20rocsparse_direction_iiiNS_24const_host_device_scalarIT1_EEPKiS8_PKS5_S6_S8_S8_SA_S8_PiPS5_21rocsparse_index_base_SD_SD_b
	.p2align	8
	.type	_ZN9rocsparseL39bsrgeam_block_per_row_multipass_kernel2ILj256ELj16E21rocsparse_complex_numIfEEEv20rocsparse_direction_iiiNS_24const_host_device_scalarIT1_EEPKiS8_PKS5_S6_S8_S8_SA_S8_PiPS5_21rocsparse_index_base_SD_SD_b,@function
_ZN9rocsparseL39bsrgeam_block_per_row_multipass_kernel2ILj256ELj16E21rocsparse_complex_numIfEEEv20rocsparse_direction_iiiNS_24const_host_device_scalarIT1_EEPKiS8_PKS5_S6_S8_S8_SA_S8_PiPS5_21rocsparse_index_base_SD_SD_b: ; @_ZN9rocsparseL39bsrgeam_block_per_row_multipass_kernel2ILj256ELj16E21rocsparse_complex_numIfEEEv20rocsparse_direction_iiiNS_24const_host_device_scalarIT1_EEPKiS8_PKS5_S6_S8_S8_SA_S8_PiPS5_21rocsparse_index_base_SD_SD_b
; %bb.0:
	s_clause 0x2
	s_load_b128 s[4:7], s[0:1], 0x68
	s_load_b64 s[2:3], s[0:1], 0x10
	s_load_b64 s[12:13], s[0:1], 0x30
	s_wait_kmcnt 0x0
	s_bitcmp1_b32 s7, 0
	s_cselect_b32 s7, -1, 0
	s_delay_alu instid0(SALU_CYCLE_1)
	s_xor_b32 s8, s7, -1
	s_and_b32 vcc_lo, exec_lo, s7
	s_mov_b32 s7, s2
	s_cbranch_vccz .LBB22_52
; %bb.1:
	v_cndmask_b32_e64 v1, 0, 1, s8
	s_and_not1_b32 vcc_lo, exec_lo, s8
	s_cbranch_vccz .LBB22_53
.LBB22_2:
	s_delay_alu instid0(VALU_DEP_1)
	v_cmp_ne_u32_e32 vcc_lo, 1, v1
	s_mov_b32 s2, s12
	s_cbranch_vccnz .LBB22_4
.LBB22_3:
	s_load_b32 s2, s[12:13], 0x0
.LBB22_4:
	s_clause 0x2
	s_load_b64 s[8:9], s[0:1], 0x50
	s_load_b64 s[14:15], s[0:1], 0x18
	;; [unrolled: 1-line block ×3, first 2 shown]
	v_cmp_ne_u32_e32 vcc_lo, 1, v1
	s_cbranch_vccnz .LBB22_6
; %bb.5:
	s_load_b32 s13, s[12:13], 0x4
.LBB22_6:
	s_mov_b32 s16, ttmp9
	s_ashr_i32 s17, ttmp9, 31
	s_delay_alu instid0(SALU_CYCLE_1)
	s_lshl_b64 s[20:21], s[16:17], 2
	s_wait_kmcnt 0x0
	s_add_nc_u64 s[14:15], s[14:15], s[20:21]
	s_add_nc_u64 s[10:11], s[10:11], s[20:21]
	s_load_b64 s[28:29], s[14:15], 0x0
	s_clause 0x1
	s_load_b64 s[14:15], s[0:1], 0x8
	s_load_b64 s[16:17], s[0:1], 0x20
	;; [unrolled: 1-line block ×3, first 2 shown]
	s_add_nc_u64 s[24:25], s[8:9], s[20:21]
	s_wait_kmcnt 0x0
	s_mov_b32 s19, s14
	s_sub_co_i32 s18, s28, s4
	s_cmp_ge_i32 s28, s29
	s_cbranch_scc1 .LBB22_8
; %bb.7:
	s_ashr_i32 s19, s18, 31
	s_delay_alu instid0(SALU_CYCLE_1)
	s_lshl_b64 s[8:9], s[18:19], 2
	s_wait_alu 0xfffe
	s_add_nc_u64 s[8:9], s[16:17], s[8:9]
	s_load_b32 s8, s[8:9], 0x0
	s_wait_kmcnt 0x0
	s_sub_co_i32 s19, s8, s4
.LBB22_8:
	s_clause 0x2
	s_load_b64 s[20:21], s[0:1], 0x60
	s_load_b64 s[22:23], s[0:1], 0x28
	s_load_b128 s[8:11], s[0:1], 0x40
	s_load_b32 s28, s[24:25], 0x0
	s_sub_co_i32 s24, s30, s5
	s_cmp_ge_i32 s30, s31
	s_mov_b32 s25, s14
	s_cbranch_scc1 .LBB22_10
; %bb.9:
	s_ashr_i32 s25, s24, 31
	s_delay_alu instid0(SALU_CYCLE_1)
	s_lshl_b64 s[26:27], s[24:25], 2
	s_wait_kmcnt 0x0
	s_add_nc_u64 s[26:27], s[8:9], s[26:27]
	s_load_b32 s12, s[26:27], 0x0
	s_wait_kmcnt 0x0
	s_sub_co_i32 s25, s12, s5
.LBB22_10:
	s_clause 0x1
	s_load_b32 s33, s[0:1], 0x0
	s_load_b64 s[26:27], s[0:1], 0x58
	v_dual_mov_b32 v4, 0 :: v_dual_and_b32 v1, 15, v0
	v_lshrrev_b32_e32 v2, 4, v0
	s_sub_co_i32 s12, s29, s4
	s_sub_co_i32 s30, s31, s5
	s_delay_alu instid0(VALU_DEP_2)
	v_cmp_gt_u32_e32 vcc_lo, s15, v1
	v_dual_mov_b32 v6, v4 :: v_dual_lshlrev_b32 v7, 7, v1
	v_dual_mov_b32 v10, 1 :: v_dual_lshlrev_b32 v3, 3, v2
	v_cmp_gt_i32_e64 s0, s15, v2
	s_wait_kmcnt 0x0
	s_sub_co_i32 s28, s28, s6
	s_min_i32 s29, s25, s19
	v_dual_mov_b32 v5, v4 :: v_dual_lshlrev_b32 v0, 3, v0
	s_and_b32 s31, vcc_lo, s0
	v_add_nc_u32_e32 v11, v3, v7
	s_mul_i32 s34, s15, s15
	s_cmp_lg_u32 s33, 0
	s_cselect_b32 s33, -1, 0
	s_branch .LBB22_13
.LBB22_11:                              ;   in Loop: Header=BB22_13 Depth=1
	s_wait_alu 0xfffe
	s_or_b32 exec_lo, exec_lo, s0
.LBB22_12:                              ;   in Loop: Header=BB22_13 Depth=1
	s_wait_loadcnt 0x0
	s_wait_storecnt 0x0
	s_barrier_signal -1
	s_barrier_wait -1
	global_inv scope:SCOPE_SE
	ds_load_b32 v3, v4 offset:2048
	s_wait_alu 0xfffe
	s_mov_b32 s29, s25
	s_wait_loadcnt_dscnt 0x0
	s_barrier_signal -1
	s_barrier_wait -1
	global_inv scope:SCOPE_SE
	v_readfirstlane_b32 s0, v3
	s_add_co_i32 s28, s0, s28
	s_cmp_lt_i32 s25, s14
	s_cbranch_scc0 .LBB22_51
.LBB22_13:                              ; =>This Loop Header: Depth=1
                                        ;     Child Loop BB22_15 Depth 2
                                        ;     Child Loop BB22_31 Depth 2
	s_cmp_ge_i32 s18, s12
	ds_store_b32 v4, v4 offset:2048
	ds_store_b64 v0, v[5:6]
	s_wait_dscnt 0x0
	s_barrier_signal -1
	s_barrier_wait -1
	global_inv scope:SCOPE_SE
	s_cbranch_scc1 .LBB22_28
; %bb.14:                               ;   in Loop: Header=BB22_13 Depth=1
	s_mul_i32 s0, s15, s18
	s_ashr_i32 s19, s18, 31
	s_wait_alu 0xfffe
	v_add_nc_u32_e32 v3, s0, v2
	v_add_nc_u32_e32 v9, s0, v1
	s_lshl_b64 s[0:1], s[18:19], 2
	s_mov_b32 s25, 0
	s_wait_alu 0xfffe
	s_add_nc_u64 s[0:1], s[16:17], s[0:1]
	v_mad_co_u64_u32 v[7:8], null, s15, v3, v[1:2]
	v_mad_co_u64_u32 v[8:9], null, s15, v9, v[2:3]
	s_mov_b32 s35, s14
.LBB22_15:                              ;   Parent Loop BB22_13 Depth=1
                                        ; =>  This Inner Loop Header: Depth=2
	s_load_b32 s19, s[0:1], 0x0
	s_mov_b32 s37, -1
	s_wait_kmcnt 0x0
	s_sub_co_i32 s38, s19, s4
                                        ; implicit-def: $sgpr19
	s_delay_alu instid0(SALU_CYCLE_1)
	s_cmp_eq_u32 s38, s29
	s_cselect_b32 s36, -1, 0
	s_cmp_lg_u32 s38, s29
	s_cbranch_scc1 .LBB22_19
; %bb.16:                               ;   in Loop: Header=BB22_15 Depth=2
	s_and_not1_b32 vcc_lo, exec_lo, s37
	s_wait_alu 0xfffe
	s_cbranch_vccz .LBB22_20
.LBB22_17:                              ;   in Loop: Header=BB22_15 Depth=2
	s_and_not1_b32 vcc_lo, exec_lo, s36
	s_mov_b32 s35, -1
	s_wait_alu 0xfffe
	s_cbranch_vccnz .LBB22_25
.LBB22_18:                              ;   in Loop: Header=BB22_15 Depth=2
	s_add_co_i32 s18, s18, 1
	s_add_co_i32 s25, s25, s34
	s_cmp_ge_i32 s18, s12
	s_add_nc_u64 s[0:1], s[0:1], 4
	s_cselect_b32 s35, -1, 0
	s_wait_alu 0xfffe
	s_and_not1_b32 vcc_lo, exec_lo, s35
	s_wait_alu 0xfffe
	s_cbranch_vccnz .LBB22_26
	s_branch .LBB22_29
.LBB22_19:                              ;   in Loop: Header=BB22_15 Depth=2
	s_min_i32 s19, s38, s35
	s_cbranch_execnz .LBB22_17
.LBB22_20:                              ;   in Loop: Header=BB22_15 Depth=2
	ds_store_b32 v4, v10 offset:2048
	s_and_saveexec_b32 s19, s31
	s_cbranch_execz .LBB22_24
; %bb.21:                               ;   in Loop: Header=BB22_15 Depth=2
	s_and_b32 vcc_lo, exec_lo, s33
	s_wait_alu 0xfffe
	s_cbranch_vccz .LBB22_27
; %bb.22:                               ;   in Loop: Header=BB22_15 Depth=2
	v_add_nc_u32_e32 v3, s25, v8
	s_delay_alu instid0(VALU_DEP_1) | instskip(NEXT) | instid1(VALU_DEP_1)
	v_lshlrev_b64_e32 v[12:13], 3, v[3:4]
	v_add_co_u32 v12, vcc_lo, s22, v12
	s_wait_alu 0xfffd
	s_delay_alu instid0(VALU_DEP_2) | instskip(SKIP_3) | instid1(VALU_DEP_1)
	v_add_co_ci_u32_e64 v13, null, s23, v13, vcc_lo
	global_load_b64 v[12:13], v[12:13], off
	s_wait_loadcnt 0x0
	v_mul_f32_e64 v14, v13, -s3
	v_dual_mul_f32 v15, s7, v13 :: v_dual_fmac_f32 v14, s7, v12
	s_delay_alu instid0(VALU_DEP_1)
	v_fmac_f32_e32 v15, s3, v12
	ds_store_b64 v11, v[14:15]
	s_cbranch_execnz .LBB22_24
.LBB22_23:                              ;   in Loop: Header=BB22_15 Depth=2
	v_add_nc_u32_e32 v3, s25, v7
	s_delay_alu instid0(VALU_DEP_1) | instskip(NEXT) | instid1(VALU_DEP_1)
	v_lshlrev_b64_e32 v[12:13], 3, v[3:4]
	v_add_co_u32 v12, vcc_lo, s22, v12
	s_wait_alu 0xfffd
	s_delay_alu instid0(VALU_DEP_2) | instskip(SKIP_3) | instid1(VALU_DEP_1)
	v_add_co_ci_u32_e64 v13, null, s23, v13, vcc_lo
	global_load_b64 v[12:13], v[12:13], off
	s_wait_loadcnt 0x0
	v_mul_f32_e64 v14, v13, -s3
	v_dual_mul_f32 v15, s7, v13 :: v_dual_fmac_f32 v14, s7, v12
	s_delay_alu instid0(VALU_DEP_1)
	v_fmac_f32_e32 v15, s3, v12
	ds_store_b64 v0, v[14:15]
.LBB22_24:                              ;   in Loop: Header=BB22_15 Depth=2
	s_or_b32 exec_lo, exec_lo, s19
	s_mov_b32 s19, s35
	s_and_not1_b32 vcc_lo, exec_lo, s36
	s_mov_b32 s35, -1
	s_wait_alu 0xfffe
	s_cbranch_vccz .LBB22_18
.LBB22_25:                              ;   in Loop: Header=BB22_15 Depth=2
                                        ; implicit-def: $sgpr25
                                        ; implicit-def: $sgpr0_sgpr1
	s_and_not1_b32 vcc_lo, exec_lo, s35
	s_wait_alu 0xfffe
	s_cbranch_vccz .LBB22_29
.LBB22_26:                              ;   in Loop: Header=BB22_15 Depth=2
	s_mov_b32 s35, s19
	s_branch .LBB22_15
.LBB22_27:                              ;   in Loop: Header=BB22_15 Depth=2
	s_branch .LBB22_23
.LBB22_28:                              ;   in Loop: Header=BB22_13 Depth=1
	s_mov_b32 s19, s14
.LBB22_29:                              ;   in Loop: Header=BB22_13 Depth=1
	s_cmp_ge_i32 s24, s30
	s_wait_loadcnt_dscnt 0x0
	s_barrier_signal -1
	s_barrier_wait -1
	global_inv scope:SCOPE_SE
	s_cbranch_scc1 .LBB22_44
; %bb.30:                               ;   in Loop: Header=BB22_13 Depth=1
	s_mul_i32 s0, s15, s24
	s_ashr_i32 s25, s24, 31
	s_wait_alu 0xfffe
	v_add_nc_u32_e32 v3, s0, v2
	v_add_nc_u32_e32 v9, s0, v1
	s_lshl_b64 s[0:1], s[24:25], 2
	s_mov_b32 s35, 0
	s_wait_alu 0xfffe
	s_add_nc_u64 s[0:1], s[8:9], s[0:1]
	v_mad_co_u64_u32 v[7:8], null, s15, v3, v[1:2]
	v_mad_co_u64_u32 v[8:9], null, s15, v9, v[2:3]
.LBB22_31:                              ;   Parent Loop BB22_13 Depth=1
                                        ; =>  This Inner Loop Header: Depth=2
	s_load_b32 s25, s[0:1], 0x0
	s_mov_b32 s37, -1
	s_wait_kmcnt 0x0
	s_sub_co_i32 s38, s25, s5
                                        ; implicit-def: $sgpr25
	s_delay_alu instid0(SALU_CYCLE_1)
	s_cmp_eq_u32 s38, s29
	s_cselect_b32 s36, -1, 0
	s_cmp_lg_u32 s38, s29
	s_cbranch_scc1 .LBB22_35
; %bb.32:                               ;   in Loop: Header=BB22_31 Depth=2
	s_and_not1_b32 vcc_lo, exec_lo, s37
	s_wait_alu 0xfffe
	s_cbranch_vccz .LBB22_36
.LBB22_33:                              ;   in Loop: Header=BB22_31 Depth=2
	s_and_not1_b32 vcc_lo, exec_lo, s36
	s_mov_b32 s19, -1
	s_wait_alu 0xfffe
	s_cbranch_vccnz .LBB22_41
.LBB22_34:                              ;   in Loop: Header=BB22_31 Depth=2
	s_add_co_i32 s24, s24, 1
	s_add_co_i32 s35, s35, s34
	s_wait_alu 0xfffe
	s_cmp_ge_i32 s24, s30
	s_add_nc_u64 s[0:1], s[0:1], 4
	s_cselect_b32 s19, -1, 0
	s_delay_alu instid0(SALU_CYCLE_1)
	s_and_not1_b32 vcc_lo, exec_lo, s19
	s_wait_alu 0xfffe
	s_cbranch_vccnz .LBB22_42
	s_branch .LBB22_45
.LBB22_35:                              ;   in Loop: Header=BB22_31 Depth=2
	s_min_i32 s25, s38, s19
	s_cbranch_execnz .LBB22_33
.LBB22_36:                              ;   in Loop: Header=BB22_31 Depth=2
	ds_store_b32 v4, v10 offset:2048
	s_and_saveexec_b32 s25, s31
	s_cbranch_execz .LBB22_40
; %bb.37:                               ;   in Loop: Header=BB22_31 Depth=2
	s_and_b32 vcc_lo, exec_lo, s33
	s_wait_alu 0xfffe
	s_cbranch_vccz .LBB22_43
; %bb.38:                               ;   in Loop: Header=BB22_31 Depth=2
	v_add_nc_u32_e32 v3, s35, v8
	ds_load_b64 v[14:15], v11
	v_lshlrev_b64_e32 v[12:13], 3, v[3:4]
	s_delay_alu instid0(VALU_DEP_1) | instskip(SKIP_1) | instid1(VALU_DEP_2)
	v_add_co_u32 v12, vcc_lo, s10, v12
	s_wait_alu 0xfffd
	v_add_co_ci_u32_e64 v13, null, s11, v13, vcc_lo
	global_load_b64 v[12:13], v[12:13], off
	s_wait_loadcnt_dscnt 0x0
	v_fma_f32 v3, s2, v12, v14
	v_fmac_f32_e32 v15, s13, v12
	s_delay_alu instid0(VALU_DEP_2) | instskip(NEXT) | instid1(VALU_DEP_2)
	v_fma_f32 v14, -s13, v13, v3
	v_fmac_f32_e32 v15, s2, v13
	ds_store_b64 v11, v[14:15]
	s_cbranch_execnz .LBB22_40
.LBB22_39:                              ;   in Loop: Header=BB22_31 Depth=2
	v_add_nc_u32_e32 v3, s35, v7
	ds_load_b64 v[14:15], v0
	v_lshlrev_b64_e32 v[12:13], 3, v[3:4]
	s_delay_alu instid0(VALU_DEP_1) | instskip(SKIP_1) | instid1(VALU_DEP_2)
	v_add_co_u32 v12, vcc_lo, s10, v12
	s_wait_alu 0xfffd
	v_add_co_ci_u32_e64 v13, null, s11, v13, vcc_lo
	global_load_b64 v[12:13], v[12:13], off
	s_wait_loadcnt_dscnt 0x0
	v_fma_f32 v3, s2, v12, v14
	v_fmac_f32_e32 v15, s13, v12
	s_delay_alu instid0(VALU_DEP_2) | instskip(NEXT) | instid1(VALU_DEP_2)
	v_fma_f32 v14, -s13, v13, v3
	v_fmac_f32_e32 v15, s2, v13
	ds_store_b64 v0, v[14:15]
.LBB22_40:                              ;   in Loop: Header=BB22_31 Depth=2
	s_wait_alu 0xfffe
	s_or_b32 exec_lo, exec_lo, s25
	s_mov_b32 s25, s19
	s_and_not1_b32 vcc_lo, exec_lo, s36
	s_mov_b32 s19, -1
	s_wait_alu 0xfffe
	s_cbranch_vccz .LBB22_34
.LBB22_41:                              ;   in Loop: Header=BB22_31 Depth=2
                                        ; implicit-def: $sgpr35
                                        ; implicit-def: $sgpr0_sgpr1
	s_and_not1_b32 vcc_lo, exec_lo, s19
	s_wait_alu 0xfffe
	s_cbranch_vccz .LBB22_45
.LBB22_42:                              ;   in Loop: Header=BB22_31 Depth=2
	s_mov_b32 s19, s25
	s_branch .LBB22_31
.LBB22_43:                              ;   in Loop: Header=BB22_31 Depth=2
	s_branch .LBB22_39
.LBB22_44:                              ;   in Loop: Header=BB22_13 Depth=1
	s_mov_b32 s25, s19
.LBB22_45:                              ;   in Loop: Header=BB22_13 Depth=1
	s_wait_loadcnt_dscnt 0x0
	s_barrier_signal -1
	s_barrier_wait -1
	global_inv scope:SCOPE_SE
	ds_load_b32 v3, v4 offset:2048
	s_wait_dscnt 0x0
	v_cmp_eq_u32_e32 vcc_lo, 0, v3
	s_cbranch_vccnz .LBB22_12
; %bb.46:                               ;   in Loop: Header=BB22_13 Depth=1
	s_add_co_i32 s0, s29, s6
	s_ashr_i32 s29, s28, 31
	s_wait_alu 0xfffe
	v_mov_b32_e32 v3, s0
	s_lshl_b64 s[0:1], s[28:29], 2
	s_wait_alu 0xfffe
	s_add_nc_u64 s[0:1], s[26:27], s[0:1]
	global_store_b32 v4, v3, s[0:1]
	s_and_saveexec_b32 s0, s31
	s_cbranch_execz .LBB22_11
; %bb.47:                               ;   in Loop: Header=BB22_13 Depth=1
	s_and_b32 vcc_lo, exec_lo, s33
	s_mul_i32 s1, s28, s15
	s_wait_alu 0xfffe
	s_cbranch_vccz .LBB22_49
; %bb.48:                               ;   in Loop: Header=BB22_13 Depth=1
	v_add_nc_u32_e32 v3, s1, v1
	ds_load_b64 v[12:13], v11
	v_mad_co_u64_u32 v[7:8], null, v3, s15, v[2:3]
	v_mov_b32_e32 v8, v4
	s_delay_alu instid0(VALU_DEP_1) | instskip(NEXT) | instid1(VALU_DEP_1)
	v_lshlrev_b64_e32 v[7:8], 3, v[7:8]
	v_add_co_u32 v7, vcc_lo, s20, v7
	s_wait_alu 0xfffd
	s_delay_alu instid0(VALU_DEP_2)
	v_add_co_ci_u32_e64 v8, null, s21, v8, vcc_lo
	s_wait_dscnt 0x0
	global_store_b64 v[7:8], v[12:13], off
	s_cbranch_execnz .LBB22_11
	s_branch .LBB22_50
.LBB22_49:                              ;   in Loop: Header=BB22_13 Depth=1
.LBB22_50:                              ;   in Loop: Header=BB22_13 Depth=1
	v_add_nc_u32_e32 v3, s1, v2
	ds_load_b64 v[12:13], v0
	v_mad_co_u64_u32 v[7:8], null, v3, s15, v[1:2]
	v_mov_b32_e32 v8, v4
	s_delay_alu instid0(VALU_DEP_1) | instskip(NEXT) | instid1(VALU_DEP_1)
	v_lshlrev_b64_e32 v[7:8], 3, v[7:8]
	v_add_co_u32 v7, vcc_lo, s20, v7
	s_wait_alu 0xfffd
	s_delay_alu instid0(VALU_DEP_2)
	v_add_co_ci_u32_e64 v8, null, s21, v8, vcc_lo
	s_wait_dscnt 0x0
	global_store_b64 v[7:8], v[12:13], off
	s_branch .LBB22_11
.LBB22_51:
	s_endpgm
.LBB22_52:
	s_load_b32 s7, s[2:3], 0x0
	v_cndmask_b32_e64 v1, 0, 1, s8
	s_and_not1_b32 vcc_lo, exec_lo, s8
	s_cbranch_vccnz .LBB22_2
.LBB22_53:
	s_load_b32 s3, s[2:3], 0x4
	s_delay_alu instid0(VALU_DEP_1)
	v_cmp_ne_u32_e32 vcc_lo, 1, v1
	s_mov_b32 s2, s12
	s_cbranch_vccz .LBB22_3
	s_branch .LBB22_4
	.section	.rodata,"a",@progbits
	.p2align	6, 0x0
	.amdhsa_kernel _ZN9rocsparseL39bsrgeam_block_per_row_multipass_kernel2ILj256ELj16E21rocsparse_complex_numIfEEEv20rocsparse_direction_iiiNS_24const_host_device_scalarIT1_EEPKiS8_PKS5_S6_S8_S8_SA_S8_PiPS5_21rocsparse_index_base_SD_SD_b
		.amdhsa_group_segment_fixed_size 2052
		.amdhsa_private_segment_fixed_size 0
		.amdhsa_kernarg_size 120
		.amdhsa_user_sgpr_count 2
		.amdhsa_user_sgpr_dispatch_ptr 0
		.amdhsa_user_sgpr_queue_ptr 0
		.amdhsa_user_sgpr_kernarg_segment_ptr 1
		.amdhsa_user_sgpr_dispatch_id 0
		.amdhsa_user_sgpr_private_segment_size 0
		.amdhsa_wavefront_size32 1
		.amdhsa_uses_dynamic_stack 0
		.amdhsa_enable_private_segment 0
		.amdhsa_system_sgpr_workgroup_id_x 1
		.amdhsa_system_sgpr_workgroup_id_y 0
		.amdhsa_system_sgpr_workgroup_id_z 0
		.amdhsa_system_sgpr_workgroup_info 0
		.amdhsa_system_vgpr_workitem_id 0
		.amdhsa_next_free_vgpr 16
		.amdhsa_next_free_sgpr 39
		.amdhsa_reserve_vcc 1
		.amdhsa_float_round_mode_32 0
		.amdhsa_float_round_mode_16_64 0
		.amdhsa_float_denorm_mode_32 3
		.amdhsa_float_denorm_mode_16_64 3
		.amdhsa_fp16_overflow 0
		.amdhsa_workgroup_processor_mode 1
		.amdhsa_memory_ordered 1
		.amdhsa_forward_progress 1
		.amdhsa_inst_pref_size 15
		.amdhsa_round_robin_scheduling 0
		.amdhsa_exception_fp_ieee_invalid_op 0
		.amdhsa_exception_fp_denorm_src 0
		.amdhsa_exception_fp_ieee_div_zero 0
		.amdhsa_exception_fp_ieee_overflow 0
		.amdhsa_exception_fp_ieee_underflow 0
		.amdhsa_exception_fp_ieee_inexact 0
		.amdhsa_exception_int_div_zero 0
	.end_amdhsa_kernel
	.section	.text._ZN9rocsparseL39bsrgeam_block_per_row_multipass_kernel2ILj256ELj16E21rocsparse_complex_numIfEEEv20rocsparse_direction_iiiNS_24const_host_device_scalarIT1_EEPKiS8_PKS5_S6_S8_S8_SA_S8_PiPS5_21rocsparse_index_base_SD_SD_b,"axG",@progbits,_ZN9rocsparseL39bsrgeam_block_per_row_multipass_kernel2ILj256ELj16E21rocsparse_complex_numIfEEEv20rocsparse_direction_iiiNS_24const_host_device_scalarIT1_EEPKiS8_PKS5_S6_S8_S8_SA_S8_PiPS5_21rocsparse_index_base_SD_SD_b,comdat
.Lfunc_end22:
	.size	_ZN9rocsparseL39bsrgeam_block_per_row_multipass_kernel2ILj256ELj16E21rocsparse_complex_numIfEEEv20rocsparse_direction_iiiNS_24const_host_device_scalarIT1_EEPKiS8_PKS5_S6_S8_S8_SA_S8_PiPS5_21rocsparse_index_base_SD_SD_b, .Lfunc_end22-_ZN9rocsparseL39bsrgeam_block_per_row_multipass_kernel2ILj256ELj16E21rocsparse_complex_numIfEEEv20rocsparse_direction_iiiNS_24const_host_device_scalarIT1_EEPKiS8_PKS5_S6_S8_S8_SA_S8_PiPS5_21rocsparse_index_base_SD_SD_b
                                        ; -- End function
	.set _ZN9rocsparseL39bsrgeam_block_per_row_multipass_kernel2ILj256ELj16E21rocsparse_complex_numIfEEEv20rocsparse_direction_iiiNS_24const_host_device_scalarIT1_EEPKiS8_PKS5_S6_S8_S8_SA_S8_PiPS5_21rocsparse_index_base_SD_SD_b.num_vgpr, 16
	.set _ZN9rocsparseL39bsrgeam_block_per_row_multipass_kernel2ILj256ELj16E21rocsparse_complex_numIfEEEv20rocsparse_direction_iiiNS_24const_host_device_scalarIT1_EEPKiS8_PKS5_S6_S8_S8_SA_S8_PiPS5_21rocsparse_index_base_SD_SD_b.num_agpr, 0
	.set _ZN9rocsparseL39bsrgeam_block_per_row_multipass_kernel2ILj256ELj16E21rocsparse_complex_numIfEEEv20rocsparse_direction_iiiNS_24const_host_device_scalarIT1_EEPKiS8_PKS5_S6_S8_S8_SA_S8_PiPS5_21rocsparse_index_base_SD_SD_b.numbered_sgpr, 39
	.set _ZN9rocsparseL39bsrgeam_block_per_row_multipass_kernel2ILj256ELj16E21rocsparse_complex_numIfEEEv20rocsparse_direction_iiiNS_24const_host_device_scalarIT1_EEPKiS8_PKS5_S6_S8_S8_SA_S8_PiPS5_21rocsparse_index_base_SD_SD_b.num_named_barrier, 0
	.set _ZN9rocsparseL39bsrgeam_block_per_row_multipass_kernel2ILj256ELj16E21rocsparse_complex_numIfEEEv20rocsparse_direction_iiiNS_24const_host_device_scalarIT1_EEPKiS8_PKS5_S6_S8_S8_SA_S8_PiPS5_21rocsparse_index_base_SD_SD_b.private_seg_size, 0
	.set _ZN9rocsparseL39bsrgeam_block_per_row_multipass_kernel2ILj256ELj16E21rocsparse_complex_numIfEEEv20rocsparse_direction_iiiNS_24const_host_device_scalarIT1_EEPKiS8_PKS5_S6_S8_S8_SA_S8_PiPS5_21rocsparse_index_base_SD_SD_b.uses_vcc, 1
	.set _ZN9rocsparseL39bsrgeam_block_per_row_multipass_kernel2ILj256ELj16E21rocsparse_complex_numIfEEEv20rocsparse_direction_iiiNS_24const_host_device_scalarIT1_EEPKiS8_PKS5_S6_S8_S8_SA_S8_PiPS5_21rocsparse_index_base_SD_SD_b.uses_flat_scratch, 0
	.set _ZN9rocsparseL39bsrgeam_block_per_row_multipass_kernel2ILj256ELj16E21rocsparse_complex_numIfEEEv20rocsparse_direction_iiiNS_24const_host_device_scalarIT1_EEPKiS8_PKS5_S6_S8_S8_SA_S8_PiPS5_21rocsparse_index_base_SD_SD_b.has_dyn_sized_stack, 0
	.set _ZN9rocsparseL39bsrgeam_block_per_row_multipass_kernel2ILj256ELj16E21rocsparse_complex_numIfEEEv20rocsparse_direction_iiiNS_24const_host_device_scalarIT1_EEPKiS8_PKS5_S6_S8_S8_SA_S8_PiPS5_21rocsparse_index_base_SD_SD_b.has_recursion, 0
	.set _ZN9rocsparseL39bsrgeam_block_per_row_multipass_kernel2ILj256ELj16E21rocsparse_complex_numIfEEEv20rocsparse_direction_iiiNS_24const_host_device_scalarIT1_EEPKiS8_PKS5_S6_S8_S8_SA_S8_PiPS5_21rocsparse_index_base_SD_SD_b.has_indirect_call, 0
	.section	.AMDGPU.csdata,"",@progbits
; Kernel info:
; codeLenInByte = 1832
; TotalNumSgprs: 41
; NumVgprs: 16
; ScratchSize: 0
; MemoryBound: 0
; FloatMode: 240
; IeeeMode: 1
; LDSByteSize: 2052 bytes/workgroup (compile time only)
; SGPRBlocks: 0
; VGPRBlocks: 1
; NumSGPRsForWavesPerEU: 41
; NumVGPRsForWavesPerEU: 16
; Occupancy: 16
; WaveLimiterHint : 1
; COMPUTE_PGM_RSRC2:SCRATCH_EN: 0
; COMPUTE_PGM_RSRC2:USER_SGPR: 2
; COMPUTE_PGM_RSRC2:TRAP_HANDLER: 0
; COMPUTE_PGM_RSRC2:TGID_X_EN: 1
; COMPUTE_PGM_RSRC2:TGID_Y_EN: 0
; COMPUTE_PGM_RSRC2:TGID_Z_EN: 0
; COMPUTE_PGM_RSRC2:TIDIG_COMP_CNT: 0
	.section	.text._ZN9rocsparseL39bsrgeam_block_per_row_multipass_kernel2ILj256ELj32E21rocsparse_complex_numIfEEEv20rocsparse_direction_iiiNS_24const_host_device_scalarIT1_EEPKiS8_PKS5_S6_S8_S8_SA_S8_PiPS5_21rocsparse_index_base_SD_SD_b,"axG",@progbits,_ZN9rocsparseL39bsrgeam_block_per_row_multipass_kernel2ILj256ELj32E21rocsparse_complex_numIfEEEv20rocsparse_direction_iiiNS_24const_host_device_scalarIT1_EEPKiS8_PKS5_S6_S8_S8_SA_S8_PiPS5_21rocsparse_index_base_SD_SD_b,comdat
	.globl	_ZN9rocsparseL39bsrgeam_block_per_row_multipass_kernel2ILj256ELj32E21rocsparse_complex_numIfEEEv20rocsparse_direction_iiiNS_24const_host_device_scalarIT1_EEPKiS8_PKS5_S6_S8_S8_SA_S8_PiPS5_21rocsparse_index_base_SD_SD_b ; -- Begin function _ZN9rocsparseL39bsrgeam_block_per_row_multipass_kernel2ILj256ELj32E21rocsparse_complex_numIfEEEv20rocsparse_direction_iiiNS_24const_host_device_scalarIT1_EEPKiS8_PKS5_S6_S8_S8_SA_S8_PiPS5_21rocsparse_index_base_SD_SD_b
	.p2align	8
	.type	_ZN9rocsparseL39bsrgeam_block_per_row_multipass_kernel2ILj256ELj32E21rocsparse_complex_numIfEEEv20rocsparse_direction_iiiNS_24const_host_device_scalarIT1_EEPKiS8_PKS5_S6_S8_S8_SA_S8_PiPS5_21rocsparse_index_base_SD_SD_b,@function
_ZN9rocsparseL39bsrgeam_block_per_row_multipass_kernel2ILj256ELj32E21rocsparse_complex_numIfEEEv20rocsparse_direction_iiiNS_24const_host_device_scalarIT1_EEPKiS8_PKS5_S6_S8_S8_SA_S8_PiPS5_21rocsparse_index_base_SD_SD_b: ; @_ZN9rocsparseL39bsrgeam_block_per_row_multipass_kernel2ILj256ELj32E21rocsparse_complex_numIfEEEv20rocsparse_direction_iiiNS_24const_host_device_scalarIT1_EEPKiS8_PKS5_S6_S8_S8_SA_S8_PiPS5_21rocsparse_index_base_SD_SD_b
; %bb.0:
	s_clause 0x2
	s_load_b128 s[4:7], s[0:1], 0x68
	s_load_b64 s[2:3], s[0:1], 0x10
	s_load_b64 s[12:13], s[0:1], 0x30
	s_wait_kmcnt 0x0
	s_bitcmp1_b32 s7, 0
	s_cselect_b32 s7, -1, 0
	s_delay_alu instid0(SALU_CYCLE_1)
	s_xor_b32 s8, s7, -1
	s_and_b32 vcc_lo, exec_lo, s7
	s_mov_b32 s7, s2
	s_cbranch_vccz .LBB23_97
; %bb.1:
	v_cndmask_b32_e64 v1, 0, 1, s8
	s_and_not1_b32 vcc_lo, exec_lo, s8
	s_cbranch_vccz .LBB23_98
.LBB23_2:
	s_delay_alu instid0(VALU_DEP_1)
	v_cmp_ne_u32_e32 vcc_lo, 1, v1
	s_mov_b32 s2, s12
	s_cbranch_vccnz .LBB23_4
.LBB23_3:
	s_load_b32 s2, s[12:13], 0x0
.LBB23_4:
	s_clause 0x2
	s_load_b64 s[8:9], s[0:1], 0x50
	s_load_b64 s[14:15], s[0:1], 0x18
	;; [unrolled: 1-line block ×3, first 2 shown]
	v_cmp_ne_u32_e32 vcc_lo, 1, v1
	s_cbranch_vccnz .LBB23_6
; %bb.5:
	s_load_b32 s13, s[12:13], 0x4
.LBB23_6:
	s_mov_b32 s16, ttmp9
	s_ashr_i32 s17, ttmp9, 31
	s_delay_alu instid0(SALU_CYCLE_1)
	s_lshl_b64 s[20:21], s[16:17], 2
	s_wait_kmcnt 0x0
	s_add_nc_u64 s[14:15], s[14:15], s[20:21]
	s_add_nc_u64 s[10:11], s[10:11], s[20:21]
	s_load_b64 s[28:29], s[14:15], 0x0
	s_clause 0x1
	s_load_b64 s[14:15], s[0:1], 0x8
	s_load_b64 s[16:17], s[0:1], 0x20
	;; [unrolled: 1-line block ×3, first 2 shown]
	s_add_nc_u64 s[24:25], s[8:9], s[20:21]
	s_wait_kmcnt 0x0
	s_mov_b32 s19, s14
	s_sub_co_i32 s18, s28, s4
	s_cmp_ge_i32 s28, s29
	s_cbranch_scc1 .LBB23_8
; %bb.7:
	s_ashr_i32 s19, s18, 31
	s_delay_alu instid0(SALU_CYCLE_1)
	s_lshl_b64 s[8:9], s[18:19], 2
	s_wait_alu 0xfffe
	s_add_nc_u64 s[8:9], s[16:17], s[8:9]
	s_load_b32 s8, s[8:9], 0x0
	s_wait_kmcnt 0x0
	s_sub_co_i32 s19, s8, s4
.LBB23_8:
	s_clause 0x2
	s_load_b64 s[20:21], s[0:1], 0x60
	s_load_b64 s[22:23], s[0:1], 0x28
	s_load_b128 s[8:11], s[0:1], 0x40
	s_load_b32 s28, s[24:25], 0x0
	s_sub_co_i32 s24, s30, s5
	s_cmp_ge_i32 s30, s31
	s_mov_b32 s25, s14
	s_cbranch_scc1 .LBB23_10
; %bb.9:
	s_ashr_i32 s25, s24, 31
	s_delay_alu instid0(SALU_CYCLE_1)
	s_lshl_b64 s[26:27], s[24:25], 2
	s_wait_kmcnt 0x0
	s_add_nc_u64 s[26:27], s[8:9], s[26:27]
	s_load_b32 s12, s[26:27], 0x0
	s_wait_kmcnt 0x0
	s_sub_co_i32 s25, s12, s5
.LBB23_10:
	s_clause 0x1
	s_load_b32 s33, s[0:1], 0x0
	s_load_b64 s[26:27], s[0:1], 0x58
	s_mov_b32 s36, 0
	s_sub_co_i32 s12, s29, s4
	s_mov_b32 s37, s36
	v_dual_mov_b32 v4, s36 :: v_dual_and_b32 v1, 7, v0
	v_lshrrev_b32_e32 v0, 3, v0
	s_sub_co_i32 s30, s31, s5
	s_wait_kmcnt 0x0
	s_sub_co_i32 s28, s28, s6
	v_or_b32_e32 v12, 8, v1
	v_or_b32_e32 v13, 16, v1
	v_dual_mov_b32 v3, 0 :: v_dual_lshlrev_b32 v2, 8, v0
	v_or_b32_e32 v14, 24, v1
	v_cmp_gt_i32_e32 vcc_lo, s15, v0
	v_cmp_gt_u32_e64 s0, s15, v1
	v_cmp_gt_u32_e64 s1, s15, v12
	s_min_i32 s29, s25, s19
	v_dual_mov_b32 v5, s37 :: v_dual_lshlrev_b32 v6, 8, v1
	v_lshl_or_b32 v15, v1, 3, v2
	v_mad_i32_i24 v2, 0xffffff08, v0, v2
	v_dual_mov_b32 v16, 1 :: v_dual_lshlrev_b32 v7, 8, v12
	v_lshlrev_b32_e32 v8, 8, v13
	v_lshlrev_b32_e32 v9, 8, v14
	s_cmp_lg_u32 s33, 0
	v_add_nc_u32_e32 v17, v2, v6
	s_cselect_b32 s31, -1, 0
	s_and_b32 s33, vcc_lo, s0
	s_and_b32 s34, vcc_lo, s1
	v_cmp_gt_u32_e64 s0, s15, v13
	v_cmp_gt_u32_e64 s1, s15, v14
	v_add_nc_u32_e32 v18, v2, v7
	v_add_nc_u32_e32 v19, v2, v8
	;; [unrolled: 1-line block ×3, first 2 shown]
	s_and_b32 s35, vcc_lo, s0
	s_and_b32 s36, vcc_lo, s1
	s_mul_i32 s37, s15, s15
	s_branch .LBB23_13
.LBB23_11:                              ;   in Loop: Header=BB23_13 Depth=1
	s_wait_alu 0xfffe
	s_or_b32 exec_lo, exec_lo, s1
.LBB23_12:                              ;   in Loop: Header=BB23_13 Depth=1
	s_wait_loadcnt 0x0
	s_wait_storecnt 0x0
	s_barrier_signal -1
	s_barrier_wait -1
	global_inv scope:SCOPE_SE
	ds_load_b32 v2, v3 offset:8192
	s_mov_b32 s29, s38
	s_wait_loadcnt_dscnt 0x0
	s_barrier_signal -1
	s_barrier_wait -1
	global_inv scope:SCOPE_SE
	v_readfirstlane_b32 s0, v2
	s_wait_alu 0xfffe
	s_add_co_i32 s28, s0, s28
	s_cmp_lt_i32 s38, s14
	s_cbranch_scc0 .LBB23_96
.LBB23_13:                              ; =>This Loop Header: Depth=1
                                        ;     Child Loop BB23_15 Depth 2
                                        ;     Child Loop BB23_46 Depth 2
	s_cmp_ge_i32 s18, s12
	ds_store_b32 v3, v3 offset:8192
	ds_store_2addr_b64 v15, v[4:5], v[4:5] offset1:8
	ds_store_2addr_b64 v15, v[4:5], v[4:5] offset0:16 offset1:24
	s_wait_dscnt 0x0
	s_barrier_signal -1
	s_barrier_wait -1
	global_inv scope:SCOPE_SE
	s_cbranch_scc1 .LBB23_43
; %bb.14:                               ;   in Loop: Header=BB23_13 Depth=1
	s_mul_i32 s0, s15, s18
	s_ashr_i32 s19, s18, 31
	s_wait_alu 0xfffe
	v_add_nc_u32_e32 v2, s0, v1
	v_add_nc_u32_e32 v8, s0, v12
	;; [unrolled: 1-line block ×4, first 2 shown]
	s_mov_b32 s25, 0
	v_mad_co_u64_u32 v[6:7], null, s15, v2, v[0:1]
	v_add_nc_u32_e32 v2, s0, v14
	v_mad_co_u64_u32 v[7:8], null, s15, v8, v[0:1]
	v_mad_co_u64_u32 v[8:9], null, s15, v9, v[0:1]
	s_delay_alu instid0(VALU_DEP_3)
	v_mad_co_u64_u32 v[9:10], null, s15, v2, v[0:1]
	v_mad_co_u64_u32 v[10:11], null, s15, v11, v[1:2]
	s_lshl_b64 s[0:1], s[18:19], 2
	s_mov_b32 s38, s14
	s_wait_alu 0xfffe
	s_add_nc_u64 s[0:1], s[16:17], s[0:1]
.LBB23_15:                              ;   Parent Loop BB23_13 Depth=1
                                        ; =>  This Inner Loop Header: Depth=2
	s_load_b32 s19, s[0:1], 0x0
	s_mov_b32 s40, -1
	s_wait_kmcnt 0x0
	s_sub_co_i32 s41, s19, s4
                                        ; implicit-def: $sgpr19
	s_delay_alu instid0(SALU_CYCLE_1)
	s_cmp_eq_u32 s41, s29
	s_cselect_b32 s39, -1, 0
	s_cmp_lg_u32 s41, s29
	s_cbranch_scc1 .LBB23_19
; %bb.16:                               ;   in Loop: Header=BB23_15 Depth=2
	s_and_not1_b32 vcc_lo, exec_lo, s40
	s_wait_alu 0xfffe
	s_cbranch_vccz .LBB23_20
.LBB23_17:                              ;   in Loop: Header=BB23_15 Depth=2
	s_and_not1_b32 vcc_lo, exec_lo, s39
	s_mov_b32 s38, -1
	s_wait_alu 0xfffe
	s_cbranch_vccnz .LBB23_37
.LBB23_18:                              ;   in Loop: Header=BB23_15 Depth=2
	s_add_co_i32 s18, s18, 1
	s_add_co_i32 s25, s25, s37
	s_cmp_ge_i32 s18, s12
	s_add_nc_u64 s[0:1], s[0:1], 4
	s_cselect_b32 s38, -1, 0
	s_delay_alu instid0(SALU_CYCLE_1)
	s_and_not1_b32 vcc_lo, exec_lo, s38
	s_wait_alu 0xfffe
	s_cbranch_vccnz .LBB23_38
	s_branch .LBB23_44
.LBB23_19:                              ;   in Loop: Header=BB23_15 Depth=2
	s_min_i32 s19, s41, s38
	s_cbranch_execnz .LBB23_17
.LBB23_20:                              ;   in Loop: Header=BB23_15 Depth=2
	ds_store_b32 v3, v16 offset:8192
	s_and_saveexec_b32 s19, s33
	s_cbranch_execz .LBB23_24
; %bb.21:                               ;   in Loop: Header=BB23_15 Depth=2
	s_and_b32 vcc_lo, exec_lo, s31
	s_wait_alu 0xfffe
	s_cbranch_vccz .LBB23_39
; %bb.22:                               ;   in Loop: Header=BB23_15 Depth=2
	v_add_nc_u32_e32 v2, s25, v6
	s_delay_alu instid0(VALU_DEP_1) | instskip(NEXT) | instid1(VALU_DEP_1)
	v_lshlrev_b64_e32 v[21:22], 3, v[2:3]
	v_add_co_u32 v21, vcc_lo, s22, v21
	s_wait_alu 0xfffd
	s_delay_alu instid0(VALU_DEP_2) | instskip(SKIP_3) | instid1(VALU_DEP_1)
	v_add_co_ci_u32_e64 v22, null, s23, v22, vcc_lo
	global_load_b64 v[21:22], v[21:22], off
	s_wait_loadcnt 0x0
	v_mul_f32_e64 v23, v22, -s3
	v_dual_mul_f32 v24, s7, v22 :: v_dual_fmac_f32 v23, s7, v21
	s_delay_alu instid0(VALU_DEP_1)
	v_fmac_f32_e32 v24, s3, v21
	ds_store_b64 v17, v[23:24]
	s_cbranch_execnz .LBB23_24
.LBB23_23:                              ;   in Loop: Header=BB23_15 Depth=2
	v_add_nc_u32_e32 v2, s25, v10
	s_delay_alu instid0(VALU_DEP_1) | instskip(NEXT) | instid1(VALU_DEP_1)
	v_lshlrev_b64_e32 v[21:22], 3, v[2:3]
	v_add_co_u32 v21, vcc_lo, s22, v21
	s_wait_alu 0xfffd
	s_delay_alu instid0(VALU_DEP_2) | instskip(SKIP_3) | instid1(VALU_DEP_1)
	v_add_co_ci_u32_e64 v22, null, s23, v22, vcc_lo
	global_load_b64 v[21:22], v[21:22], off
	s_wait_loadcnt 0x0
	v_mul_f32_e64 v23, v22, -s3
	v_dual_mul_f32 v24, s7, v22 :: v_dual_fmac_f32 v23, s7, v21
	s_delay_alu instid0(VALU_DEP_1)
	v_fmac_f32_e32 v24, s3, v21
	ds_store_b64 v15, v[23:24]
.LBB23_24:                              ;   in Loop: Header=BB23_15 Depth=2
	s_or_b32 exec_lo, exec_lo, s19
	s_and_saveexec_b32 s19, s34
	s_cbranch_execz .LBB23_28
; %bb.25:                               ;   in Loop: Header=BB23_15 Depth=2
	s_and_not1_b32 vcc_lo, exec_lo, s31
	s_wait_alu 0xfffe
	s_cbranch_vccnz .LBB23_40
; %bb.26:                               ;   in Loop: Header=BB23_15 Depth=2
	v_add_nc_u32_e32 v2, s25, v7
	s_delay_alu instid0(VALU_DEP_1) | instskip(NEXT) | instid1(VALU_DEP_1)
	v_lshlrev_b64_e32 v[21:22], 3, v[2:3]
	v_add_co_u32 v21, vcc_lo, s22, v21
	s_wait_alu 0xfffd
	s_delay_alu instid0(VALU_DEP_2) | instskip(SKIP_3) | instid1(VALU_DEP_1)
	v_add_co_ci_u32_e64 v22, null, s23, v22, vcc_lo
	global_load_b64 v[21:22], v[21:22], off
	s_wait_loadcnt 0x0
	v_mul_f32_e64 v23, v22, -s3
	v_dual_mul_f32 v24, s7, v22 :: v_dual_fmac_f32 v23, s7, v21
	s_delay_alu instid0(VALU_DEP_1)
	v_fmac_f32_e32 v24, s3, v21
	ds_store_b64 v18, v[23:24]
	s_cbranch_execnz .LBB23_28
.LBB23_27:                              ;   in Loop: Header=BB23_15 Depth=2
	v_add3_u32 v2, v10, s25, 8
	s_delay_alu instid0(VALU_DEP_1) | instskip(NEXT) | instid1(VALU_DEP_1)
	v_lshlrev_b64_e32 v[21:22], 3, v[2:3]
	v_add_co_u32 v21, vcc_lo, s22, v21
	s_wait_alu 0xfffd
	s_delay_alu instid0(VALU_DEP_2) | instskip(SKIP_3) | instid1(VALU_DEP_1)
	v_add_co_ci_u32_e64 v22, null, s23, v22, vcc_lo
	global_load_b64 v[21:22], v[21:22], off
	s_wait_loadcnt 0x0
	v_mul_f32_e64 v23, v22, -s3
	v_dual_mul_f32 v24, s7, v22 :: v_dual_fmac_f32 v23, s7, v21
	s_delay_alu instid0(VALU_DEP_1)
	v_fmac_f32_e32 v24, s3, v21
	ds_store_b64 v15, v[23:24] offset:64
.LBB23_28:                              ;   in Loop: Header=BB23_15 Depth=2
	s_or_b32 exec_lo, exec_lo, s19
	s_and_saveexec_b32 s19, s35
	s_cbranch_execz .LBB23_32
; %bb.29:                               ;   in Loop: Header=BB23_15 Depth=2
	s_and_not1_b32 vcc_lo, exec_lo, s31
	s_wait_alu 0xfffe
	s_cbranch_vccnz .LBB23_41
; %bb.30:                               ;   in Loop: Header=BB23_15 Depth=2
	v_add_nc_u32_e32 v2, s25, v8
	s_delay_alu instid0(VALU_DEP_1) | instskip(NEXT) | instid1(VALU_DEP_1)
	v_lshlrev_b64_e32 v[21:22], 3, v[2:3]
	v_add_co_u32 v21, vcc_lo, s22, v21
	s_wait_alu 0xfffd
	s_delay_alu instid0(VALU_DEP_2) | instskip(SKIP_3) | instid1(VALU_DEP_1)
	v_add_co_ci_u32_e64 v22, null, s23, v22, vcc_lo
	global_load_b64 v[21:22], v[21:22], off
	s_wait_loadcnt 0x0
	v_mul_f32_e64 v23, v22, -s3
	v_dual_mul_f32 v24, s7, v22 :: v_dual_fmac_f32 v23, s7, v21
	s_delay_alu instid0(VALU_DEP_1)
	v_fmac_f32_e32 v24, s3, v21
	ds_store_b64 v19, v[23:24]
	s_cbranch_execnz .LBB23_32
.LBB23_31:                              ;   in Loop: Header=BB23_15 Depth=2
	v_add3_u32 v2, v10, s25, 16
	s_delay_alu instid0(VALU_DEP_1) | instskip(NEXT) | instid1(VALU_DEP_1)
	v_lshlrev_b64_e32 v[21:22], 3, v[2:3]
	v_add_co_u32 v21, vcc_lo, s22, v21
	s_wait_alu 0xfffd
	s_delay_alu instid0(VALU_DEP_2) | instskip(SKIP_3) | instid1(VALU_DEP_1)
	v_add_co_ci_u32_e64 v22, null, s23, v22, vcc_lo
	global_load_b64 v[21:22], v[21:22], off
	s_wait_loadcnt 0x0
	v_mul_f32_e64 v23, v22, -s3
	v_dual_mul_f32 v24, s7, v22 :: v_dual_fmac_f32 v23, s7, v21
	s_delay_alu instid0(VALU_DEP_1)
	v_fmac_f32_e32 v24, s3, v21
	ds_store_b64 v15, v[23:24] offset:128
.LBB23_32:                              ;   in Loop: Header=BB23_15 Depth=2
	s_or_b32 exec_lo, exec_lo, s19
	s_and_saveexec_b32 s19, s36
	s_cbranch_execz .LBB23_36
; %bb.33:                               ;   in Loop: Header=BB23_15 Depth=2
	s_and_not1_b32 vcc_lo, exec_lo, s31
	s_wait_alu 0xfffe
	s_cbranch_vccnz .LBB23_42
; %bb.34:                               ;   in Loop: Header=BB23_15 Depth=2
	v_add_nc_u32_e32 v2, s25, v9
	s_delay_alu instid0(VALU_DEP_1) | instskip(NEXT) | instid1(VALU_DEP_1)
	v_lshlrev_b64_e32 v[21:22], 3, v[2:3]
	v_add_co_u32 v21, vcc_lo, s22, v21
	s_wait_alu 0xfffd
	s_delay_alu instid0(VALU_DEP_2) | instskip(SKIP_3) | instid1(VALU_DEP_1)
	v_add_co_ci_u32_e64 v22, null, s23, v22, vcc_lo
	global_load_b64 v[21:22], v[21:22], off
	s_wait_loadcnt 0x0
	v_mul_f32_e64 v23, v22, -s3
	v_dual_mul_f32 v24, s7, v22 :: v_dual_fmac_f32 v23, s7, v21
	s_delay_alu instid0(VALU_DEP_1)
	v_fmac_f32_e32 v24, s3, v21
	ds_store_b64 v20, v[23:24]
	s_cbranch_execnz .LBB23_36
.LBB23_35:                              ;   in Loop: Header=BB23_15 Depth=2
	v_add3_u32 v2, v10, s25, 24
	s_delay_alu instid0(VALU_DEP_1) | instskip(NEXT) | instid1(VALU_DEP_1)
	v_lshlrev_b64_e32 v[21:22], 3, v[2:3]
	v_add_co_u32 v21, vcc_lo, s22, v21
	s_wait_alu 0xfffd
	s_delay_alu instid0(VALU_DEP_2) | instskip(SKIP_3) | instid1(VALU_DEP_1)
	v_add_co_ci_u32_e64 v22, null, s23, v22, vcc_lo
	global_load_b64 v[21:22], v[21:22], off
	s_wait_loadcnt 0x0
	v_mul_f32_e64 v23, v22, -s3
	v_dual_mul_f32 v24, s7, v22 :: v_dual_fmac_f32 v23, s7, v21
	s_delay_alu instid0(VALU_DEP_1)
	v_fmac_f32_e32 v24, s3, v21
	ds_store_b64 v15, v[23:24] offset:192
.LBB23_36:                              ;   in Loop: Header=BB23_15 Depth=2
	s_or_b32 exec_lo, exec_lo, s19
	s_mov_b32 s19, s38
	s_and_not1_b32 vcc_lo, exec_lo, s39
	s_mov_b32 s38, -1
	s_wait_alu 0xfffe
	s_cbranch_vccz .LBB23_18
.LBB23_37:                              ;   in Loop: Header=BB23_15 Depth=2
                                        ; implicit-def: $sgpr25
                                        ; implicit-def: $sgpr0_sgpr1
	s_and_not1_b32 vcc_lo, exec_lo, s38
	s_wait_alu 0xfffe
	s_cbranch_vccz .LBB23_44
.LBB23_38:                              ;   in Loop: Header=BB23_15 Depth=2
	s_mov_b32 s38, s19
	s_branch .LBB23_15
.LBB23_39:                              ;   in Loop: Header=BB23_15 Depth=2
	s_branch .LBB23_23
.LBB23_40:                              ;   in Loop: Header=BB23_15 Depth=2
	s_branch .LBB23_27
.LBB23_41:                              ;   in Loop: Header=BB23_15 Depth=2
	s_branch .LBB23_31
.LBB23_42:                              ;   in Loop: Header=BB23_15 Depth=2
	s_branch .LBB23_35
.LBB23_43:                              ;   in Loop: Header=BB23_13 Depth=1
	s_mov_b32 s19, s14
.LBB23_44:                              ;   in Loop: Header=BB23_13 Depth=1
	s_cmp_ge_i32 s24, s30
	s_wait_loadcnt_dscnt 0x0
	s_barrier_signal -1
	s_barrier_wait -1
	global_inv scope:SCOPE_SE
	s_cbranch_scc1 .LBB23_74
; %bb.45:                               ;   in Loop: Header=BB23_13 Depth=1
	s_mul_i32 s0, s15, s24
	s_ashr_i32 s25, s24, 31
	s_wait_alu 0xfffe
	v_add_nc_u32_e32 v2, s0, v1
	v_add_nc_u32_e32 v8, s0, v12
	v_add_nc_u32_e32 v9, s0, v13
	v_add_nc_u32_e32 v11, s0, v0
	s_delay_alu instid0(VALU_DEP_4) | instskip(SKIP_3) | instid1(VALU_DEP_3)
	v_mad_co_u64_u32 v[6:7], null, s15, v2, v[0:1]
	v_add_nc_u32_e32 v2, s0, v14
	v_mad_co_u64_u32 v[7:8], null, s15, v8, v[0:1]
	v_mad_co_u64_u32 v[8:9], null, s15, v9, v[0:1]
	;; [unrolled: 1-line block ×4, first 2 shown]
	s_lshl_b64 s[0:1], s[24:25], 2
	s_mov_b32 s25, 0
	s_wait_alu 0xfffe
	s_add_nc_u64 s[0:1], s[8:9], s[0:1]
.LBB23_46:                              ;   Parent Loop BB23_13 Depth=1
                                        ; =>  This Inner Loop Header: Depth=2
	s_load_b32 s38, s[0:1], 0x0
	s_mov_b32 s40, -1
	s_wait_kmcnt 0x0
	s_sub_co_i32 s41, s38, s5
                                        ; implicit-def: $sgpr38
	s_delay_alu instid0(SALU_CYCLE_1)
	s_cmp_eq_u32 s41, s29
	s_cselect_b32 s39, -1, 0
	s_cmp_lg_u32 s41, s29
	s_cbranch_scc1 .LBB23_50
; %bb.47:                               ;   in Loop: Header=BB23_46 Depth=2
	s_and_not1_b32 vcc_lo, exec_lo, s40
	s_wait_alu 0xfffe
	s_cbranch_vccz .LBB23_51
.LBB23_48:                              ;   in Loop: Header=BB23_46 Depth=2
	s_and_not1_b32 vcc_lo, exec_lo, s39
	s_mov_b32 s19, -1
	s_wait_alu 0xfffe
	s_cbranch_vccnz .LBB23_68
.LBB23_49:                              ;   in Loop: Header=BB23_46 Depth=2
	s_add_co_i32 s24, s24, 1
	s_add_co_i32 s25, s25, s37
	s_wait_alu 0xfffe
	s_cmp_ge_i32 s24, s30
	s_add_nc_u64 s[0:1], s[0:1], 4
	s_cselect_b32 s19, -1, 0
	s_delay_alu instid0(SALU_CYCLE_1)
	s_and_not1_b32 vcc_lo, exec_lo, s19
	s_wait_alu 0xfffe
	s_cbranch_vccnz .LBB23_69
	s_branch .LBB23_75
.LBB23_50:                              ;   in Loop: Header=BB23_46 Depth=2
	s_min_i32 s38, s41, s19
	s_cbranch_execnz .LBB23_48
.LBB23_51:                              ;   in Loop: Header=BB23_46 Depth=2
	ds_store_b32 v3, v16 offset:8192
	s_and_saveexec_b32 s38, s33
	s_cbranch_execz .LBB23_55
; %bb.52:                               ;   in Loop: Header=BB23_46 Depth=2
	s_and_b32 vcc_lo, exec_lo, s31
	s_wait_alu 0xfffe
	s_cbranch_vccz .LBB23_70
; %bb.53:                               ;   in Loop: Header=BB23_46 Depth=2
	v_add_nc_u32_e32 v2, s25, v6
	ds_load_b64 v[23:24], v17
	v_lshlrev_b64_e32 v[21:22], 3, v[2:3]
	s_delay_alu instid0(VALU_DEP_1) | instskip(SKIP_1) | instid1(VALU_DEP_2)
	v_add_co_u32 v21, vcc_lo, s10, v21
	s_wait_alu 0xfffd
	v_add_co_ci_u32_e64 v22, null, s11, v22, vcc_lo
	global_load_b64 v[21:22], v[21:22], off
	s_wait_loadcnt_dscnt 0x0
	v_fma_f32 v2, s2, v21, v23
	v_fmac_f32_e32 v24, s13, v21
	s_delay_alu instid0(VALU_DEP_2) | instskip(NEXT) | instid1(VALU_DEP_2)
	v_fma_f32 v23, -s13, v22, v2
	v_fmac_f32_e32 v24, s2, v22
	ds_store_b64 v17, v[23:24]
	s_cbranch_execnz .LBB23_55
.LBB23_54:                              ;   in Loop: Header=BB23_46 Depth=2
	v_add_nc_u32_e32 v2, s25, v10
	ds_load_b64 v[23:24], v15
	v_lshlrev_b64_e32 v[21:22], 3, v[2:3]
	s_delay_alu instid0(VALU_DEP_1) | instskip(SKIP_1) | instid1(VALU_DEP_2)
	v_add_co_u32 v21, vcc_lo, s10, v21
	s_wait_alu 0xfffd
	v_add_co_ci_u32_e64 v22, null, s11, v22, vcc_lo
	global_load_b64 v[21:22], v[21:22], off
	s_wait_loadcnt_dscnt 0x0
	v_fma_f32 v2, s2, v21, v23
	v_fmac_f32_e32 v24, s13, v21
	s_delay_alu instid0(VALU_DEP_2) | instskip(NEXT) | instid1(VALU_DEP_2)
	v_fma_f32 v23, -s13, v22, v2
	v_fmac_f32_e32 v24, s2, v22
	ds_store_b64 v15, v[23:24]
.LBB23_55:                              ;   in Loop: Header=BB23_46 Depth=2
	s_or_b32 exec_lo, exec_lo, s38
	s_and_saveexec_b32 s38, s34
	s_cbranch_execz .LBB23_59
; %bb.56:                               ;   in Loop: Header=BB23_46 Depth=2
	s_and_not1_b32 vcc_lo, exec_lo, s31
	s_wait_alu 0xfffe
	s_cbranch_vccnz .LBB23_71
; %bb.57:                               ;   in Loop: Header=BB23_46 Depth=2
	v_add_nc_u32_e32 v2, s25, v7
	ds_load_b64 v[23:24], v18
	v_lshlrev_b64_e32 v[21:22], 3, v[2:3]
	s_delay_alu instid0(VALU_DEP_1) | instskip(SKIP_1) | instid1(VALU_DEP_2)
	v_add_co_u32 v21, vcc_lo, s10, v21
	s_wait_alu 0xfffd
	v_add_co_ci_u32_e64 v22, null, s11, v22, vcc_lo
	global_load_b64 v[21:22], v[21:22], off
	s_wait_loadcnt_dscnt 0x0
	v_fma_f32 v2, s2, v21, v23
	v_fmac_f32_e32 v24, s13, v21
	s_delay_alu instid0(VALU_DEP_2) | instskip(NEXT) | instid1(VALU_DEP_2)
	v_fma_f32 v23, -s13, v22, v2
	v_fmac_f32_e32 v24, s2, v22
	ds_store_b64 v18, v[23:24]
	s_cbranch_execnz .LBB23_59
.LBB23_58:                              ;   in Loop: Header=BB23_46 Depth=2
	v_add3_u32 v2, v10, s25, 8
	ds_load_b64 v[23:24], v15 offset:64
	v_lshlrev_b64_e32 v[21:22], 3, v[2:3]
	s_delay_alu instid0(VALU_DEP_1) | instskip(SKIP_1) | instid1(VALU_DEP_2)
	v_add_co_u32 v21, vcc_lo, s10, v21
	s_wait_alu 0xfffd
	v_add_co_ci_u32_e64 v22, null, s11, v22, vcc_lo
	global_load_b64 v[21:22], v[21:22], off
	s_wait_loadcnt_dscnt 0x0
	v_fma_f32 v2, s2, v21, v23
	v_fmac_f32_e32 v24, s13, v21
	s_delay_alu instid0(VALU_DEP_2) | instskip(NEXT) | instid1(VALU_DEP_2)
	v_fma_f32 v23, -s13, v22, v2
	v_fmac_f32_e32 v24, s2, v22
	ds_store_b64 v15, v[23:24] offset:64
.LBB23_59:                              ;   in Loop: Header=BB23_46 Depth=2
	s_or_b32 exec_lo, exec_lo, s38
	s_and_saveexec_b32 s38, s35
	s_cbranch_execz .LBB23_63
; %bb.60:                               ;   in Loop: Header=BB23_46 Depth=2
	s_and_not1_b32 vcc_lo, exec_lo, s31
	s_wait_alu 0xfffe
	s_cbranch_vccnz .LBB23_72
; %bb.61:                               ;   in Loop: Header=BB23_46 Depth=2
	v_add_nc_u32_e32 v2, s25, v8
	ds_load_b64 v[23:24], v19
	v_lshlrev_b64_e32 v[21:22], 3, v[2:3]
	s_delay_alu instid0(VALU_DEP_1) | instskip(SKIP_1) | instid1(VALU_DEP_2)
	v_add_co_u32 v21, vcc_lo, s10, v21
	s_wait_alu 0xfffd
	v_add_co_ci_u32_e64 v22, null, s11, v22, vcc_lo
	global_load_b64 v[21:22], v[21:22], off
	s_wait_loadcnt_dscnt 0x0
	v_fma_f32 v2, s2, v21, v23
	v_fmac_f32_e32 v24, s13, v21
	s_delay_alu instid0(VALU_DEP_2) | instskip(NEXT) | instid1(VALU_DEP_2)
	v_fma_f32 v23, -s13, v22, v2
	v_fmac_f32_e32 v24, s2, v22
	ds_store_b64 v19, v[23:24]
	s_cbranch_execnz .LBB23_63
.LBB23_62:                              ;   in Loop: Header=BB23_46 Depth=2
	v_add3_u32 v2, v10, s25, 16
	ds_load_b64 v[23:24], v15 offset:128
	v_lshlrev_b64_e32 v[21:22], 3, v[2:3]
	s_delay_alu instid0(VALU_DEP_1) | instskip(SKIP_1) | instid1(VALU_DEP_2)
	v_add_co_u32 v21, vcc_lo, s10, v21
	s_wait_alu 0xfffd
	v_add_co_ci_u32_e64 v22, null, s11, v22, vcc_lo
	global_load_b64 v[21:22], v[21:22], off
	s_wait_loadcnt_dscnt 0x0
	v_fma_f32 v2, s2, v21, v23
	v_fmac_f32_e32 v24, s13, v21
	s_delay_alu instid0(VALU_DEP_2) | instskip(NEXT) | instid1(VALU_DEP_2)
	v_fma_f32 v23, -s13, v22, v2
	v_fmac_f32_e32 v24, s2, v22
	ds_store_b64 v15, v[23:24] offset:128
.LBB23_63:                              ;   in Loop: Header=BB23_46 Depth=2
	s_or_b32 exec_lo, exec_lo, s38
	s_and_saveexec_b32 s38, s36
	s_cbranch_execz .LBB23_67
; %bb.64:                               ;   in Loop: Header=BB23_46 Depth=2
	s_and_not1_b32 vcc_lo, exec_lo, s31
	s_wait_alu 0xfffe
	s_cbranch_vccnz .LBB23_73
; %bb.65:                               ;   in Loop: Header=BB23_46 Depth=2
	v_add_nc_u32_e32 v2, s25, v9
	ds_load_b64 v[23:24], v20
	v_lshlrev_b64_e32 v[21:22], 3, v[2:3]
	s_delay_alu instid0(VALU_DEP_1) | instskip(SKIP_1) | instid1(VALU_DEP_2)
	v_add_co_u32 v21, vcc_lo, s10, v21
	s_wait_alu 0xfffd
	v_add_co_ci_u32_e64 v22, null, s11, v22, vcc_lo
	global_load_b64 v[21:22], v[21:22], off
	s_wait_loadcnt_dscnt 0x0
	v_fma_f32 v2, s2, v21, v23
	v_fmac_f32_e32 v24, s13, v21
	s_delay_alu instid0(VALU_DEP_2) | instskip(NEXT) | instid1(VALU_DEP_2)
	v_fma_f32 v23, -s13, v22, v2
	v_fmac_f32_e32 v24, s2, v22
	ds_store_b64 v20, v[23:24]
	s_cbranch_execnz .LBB23_67
.LBB23_66:                              ;   in Loop: Header=BB23_46 Depth=2
	v_add3_u32 v2, v10, s25, 24
	ds_load_b64 v[23:24], v15 offset:192
	v_lshlrev_b64_e32 v[21:22], 3, v[2:3]
	s_delay_alu instid0(VALU_DEP_1) | instskip(SKIP_1) | instid1(VALU_DEP_2)
	v_add_co_u32 v21, vcc_lo, s10, v21
	s_wait_alu 0xfffd
	v_add_co_ci_u32_e64 v22, null, s11, v22, vcc_lo
	global_load_b64 v[21:22], v[21:22], off
	s_wait_loadcnt_dscnt 0x0
	v_fma_f32 v2, s2, v21, v23
	v_fmac_f32_e32 v24, s13, v21
	s_delay_alu instid0(VALU_DEP_2) | instskip(NEXT) | instid1(VALU_DEP_2)
	v_fma_f32 v23, -s13, v22, v2
	v_fmac_f32_e32 v24, s2, v22
	ds_store_b64 v15, v[23:24] offset:192
.LBB23_67:                              ;   in Loop: Header=BB23_46 Depth=2
	s_or_b32 exec_lo, exec_lo, s38
	s_mov_b32 s38, s19
	s_and_not1_b32 vcc_lo, exec_lo, s39
	s_mov_b32 s19, -1
	s_wait_alu 0xfffe
	s_cbranch_vccz .LBB23_49
.LBB23_68:                              ;   in Loop: Header=BB23_46 Depth=2
                                        ; implicit-def: $sgpr25
                                        ; implicit-def: $sgpr0_sgpr1
	s_and_not1_b32 vcc_lo, exec_lo, s19
	s_wait_alu 0xfffe
	s_cbranch_vccz .LBB23_75
.LBB23_69:                              ;   in Loop: Header=BB23_46 Depth=2
	s_mov_b32 s19, s38
	s_branch .LBB23_46
.LBB23_70:                              ;   in Loop: Header=BB23_46 Depth=2
	s_branch .LBB23_54
.LBB23_71:                              ;   in Loop: Header=BB23_46 Depth=2
	s_branch .LBB23_58
.LBB23_72:                              ;   in Loop: Header=BB23_46 Depth=2
	s_branch .LBB23_62
.LBB23_73:                              ;   in Loop: Header=BB23_46 Depth=2
	s_branch .LBB23_66
.LBB23_74:                              ;   in Loop: Header=BB23_13 Depth=1
	s_mov_b32 s38, s19
.LBB23_75:                              ;   in Loop: Header=BB23_13 Depth=1
	s_wait_loadcnt_dscnt 0x0
	s_barrier_signal -1
	s_barrier_wait -1
	global_inv scope:SCOPE_SE
	ds_load_b32 v2, v3 offset:8192
	s_wait_dscnt 0x0
	v_cmp_eq_u32_e32 vcc_lo, 0, v2
	s_cbranch_vccnz .LBB23_12
; %bb.76:                               ;   in Loop: Header=BB23_13 Depth=1
	s_mul_i32 s0, s28, s15
	s_add_co_i32 s1, s29, s6
	s_wait_alu 0xfffe
	v_add_nc_u32_e32 v2, s0, v0
	s_ashr_i32 s29, s28, 31
	s_delay_alu instid0(SALU_CYCLE_1) | instskip(NEXT) | instid1(SALU_CYCLE_1)
	s_lshl_b64 s[40:41], s[28:29], 2
	s_add_nc_u64 s[40:41], s[26:27], s[40:41]
	s_delay_alu instid0(VALU_DEP_1)
	v_mul_lo_u32 v6, v2, s15
	v_mov_b32_e32 v2, s1
	global_store_b32 v3, v2, s[40:41]
	s_and_saveexec_b32 s1, s33
	s_cbranch_execz .LBB23_80
; %bb.77:                               ;   in Loop: Header=BB23_13 Depth=1
	s_and_b32 vcc_lo, exec_lo, s31
	s_wait_alu 0xfffe
	s_cbranch_vccz .LBB23_91
; %bb.78:                               ;   in Loop: Header=BB23_13 Depth=1
	v_add_nc_u32_e32 v2, s0, v1
	ds_load_b64 v[9:10], v17
	v_mad_co_u64_u32 v[7:8], null, v2, s15, v[0:1]
	v_mov_b32_e32 v8, v3
	s_delay_alu instid0(VALU_DEP_1) | instskip(NEXT) | instid1(VALU_DEP_1)
	v_lshlrev_b64_e32 v[7:8], 3, v[7:8]
	v_add_co_u32 v7, vcc_lo, s20, v7
	s_wait_alu 0xfffd
	s_delay_alu instid0(VALU_DEP_2)
	v_add_co_ci_u32_e64 v8, null, s21, v8, vcc_lo
	s_wait_dscnt 0x0
	global_store_b64 v[7:8], v[9:10], off
	s_cbranch_execnz .LBB23_80
.LBB23_79:                              ;   in Loop: Header=BB23_13 Depth=1
	ds_load_b64 v[7:8], v15
	v_add_nc_u32_e32 v2, v6, v1
	s_delay_alu instid0(VALU_DEP_1) | instskip(NEXT) | instid1(VALU_DEP_1)
	v_lshlrev_b64_e32 v[9:10], 3, v[2:3]
	v_add_co_u32 v9, vcc_lo, s20, v9
	s_wait_alu 0xfffd
	s_delay_alu instid0(VALU_DEP_2)
	v_add_co_ci_u32_e64 v10, null, s21, v10, vcc_lo
	s_wait_dscnt 0x0
	global_store_b64 v[9:10], v[7:8], off
.LBB23_80:                              ;   in Loop: Header=BB23_13 Depth=1
	s_wait_alu 0xfffe
	s_or_b32 exec_lo, exec_lo, s1
	s_and_saveexec_b32 s1, s34
	s_cbranch_execz .LBB23_84
; %bb.81:                               ;   in Loop: Header=BB23_13 Depth=1
	s_and_not1_b32 vcc_lo, exec_lo, s31
	s_wait_alu 0xfffe
	s_cbranch_vccnz .LBB23_92
; %bb.82:                               ;   in Loop: Header=BB23_13 Depth=1
	v_add_nc_u32_e32 v2, s0, v12
	ds_load_b64 v[9:10], v18
	v_mad_co_u64_u32 v[7:8], null, v2, s15, v[0:1]
	v_mov_b32_e32 v8, v3
	s_delay_alu instid0(VALU_DEP_1) | instskip(NEXT) | instid1(VALU_DEP_1)
	v_lshlrev_b64_e32 v[7:8], 3, v[7:8]
	v_add_co_u32 v7, vcc_lo, s20, v7
	s_wait_alu 0xfffd
	s_delay_alu instid0(VALU_DEP_2)
	v_add_co_ci_u32_e64 v8, null, s21, v8, vcc_lo
	s_wait_dscnt 0x0
	global_store_b64 v[7:8], v[9:10], off
	s_cbranch_execnz .LBB23_84
.LBB23_83:                              ;   in Loop: Header=BB23_13 Depth=1
	ds_load_b64 v[7:8], v15 offset:64
	v_add_nc_u32_e32 v2, v6, v12
	s_delay_alu instid0(VALU_DEP_1) | instskip(NEXT) | instid1(VALU_DEP_1)
	v_lshlrev_b64_e32 v[9:10], 3, v[2:3]
	v_add_co_u32 v9, vcc_lo, s20, v9
	s_wait_alu 0xfffd
	s_delay_alu instid0(VALU_DEP_2)
	v_add_co_ci_u32_e64 v10, null, s21, v10, vcc_lo
	s_wait_dscnt 0x0
	global_store_b64 v[9:10], v[7:8], off
.LBB23_84:                              ;   in Loop: Header=BB23_13 Depth=1
	s_wait_alu 0xfffe
	s_or_b32 exec_lo, exec_lo, s1
	s_and_saveexec_b32 s1, s35
	s_cbranch_execz .LBB23_88
; %bb.85:                               ;   in Loop: Header=BB23_13 Depth=1
	s_and_not1_b32 vcc_lo, exec_lo, s31
	s_wait_alu 0xfffe
	s_cbranch_vccnz .LBB23_93
; %bb.86:                               ;   in Loop: Header=BB23_13 Depth=1
	v_add_nc_u32_e32 v2, s0, v13
	ds_load_b64 v[9:10], v19
	v_mad_co_u64_u32 v[7:8], null, v2, s15, v[0:1]
	v_mov_b32_e32 v8, v3
	s_delay_alu instid0(VALU_DEP_1) | instskip(NEXT) | instid1(VALU_DEP_1)
	v_lshlrev_b64_e32 v[7:8], 3, v[7:8]
	v_add_co_u32 v7, vcc_lo, s20, v7
	s_wait_alu 0xfffd
	s_delay_alu instid0(VALU_DEP_2)
	v_add_co_ci_u32_e64 v8, null, s21, v8, vcc_lo
	s_wait_dscnt 0x0
	global_store_b64 v[7:8], v[9:10], off
	s_cbranch_execnz .LBB23_88
.LBB23_87:                              ;   in Loop: Header=BB23_13 Depth=1
	ds_load_b64 v[7:8], v15 offset:128
	v_add_nc_u32_e32 v2, v6, v13
	s_delay_alu instid0(VALU_DEP_1) | instskip(NEXT) | instid1(VALU_DEP_1)
	v_lshlrev_b64_e32 v[9:10], 3, v[2:3]
	v_add_co_u32 v9, vcc_lo, s20, v9
	s_wait_alu 0xfffd
	s_delay_alu instid0(VALU_DEP_2)
	v_add_co_ci_u32_e64 v10, null, s21, v10, vcc_lo
	s_wait_dscnt 0x0
	global_store_b64 v[9:10], v[7:8], off
.LBB23_88:                              ;   in Loop: Header=BB23_13 Depth=1
	s_wait_alu 0xfffe
	s_or_b32 exec_lo, exec_lo, s1
	s_and_saveexec_b32 s1, s36
	s_cbranch_execz .LBB23_11
; %bb.89:                               ;   in Loop: Header=BB23_13 Depth=1
	s_and_not1_b32 vcc_lo, exec_lo, s31
	s_wait_alu 0xfffe
	s_cbranch_vccnz .LBB23_94
; %bb.90:                               ;   in Loop: Header=BB23_13 Depth=1
	v_add_nc_u32_e32 v2, s0, v14
	ds_load_b64 v[9:10], v20
	v_mad_co_u64_u32 v[7:8], null, v2, s15, v[0:1]
	v_mov_b32_e32 v8, v3
	s_delay_alu instid0(VALU_DEP_1) | instskip(NEXT) | instid1(VALU_DEP_1)
	v_lshlrev_b64_e32 v[7:8], 3, v[7:8]
	v_add_co_u32 v7, vcc_lo, s20, v7
	s_wait_alu 0xfffd
	s_delay_alu instid0(VALU_DEP_2)
	v_add_co_ci_u32_e64 v8, null, s21, v8, vcc_lo
	s_wait_dscnt 0x0
	global_store_b64 v[7:8], v[9:10], off
	s_cbranch_execnz .LBB23_11
	s_branch .LBB23_95
.LBB23_91:                              ;   in Loop: Header=BB23_13 Depth=1
	s_branch .LBB23_79
.LBB23_92:                              ;   in Loop: Header=BB23_13 Depth=1
	s_branch .LBB23_83
.LBB23_93:                              ;   in Loop: Header=BB23_13 Depth=1
	s_branch .LBB23_87
.LBB23_94:                              ;   in Loop: Header=BB23_13 Depth=1
.LBB23_95:                              ;   in Loop: Header=BB23_13 Depth=1
	ds_load_b64 v[7:8], v15 offset:192
	v_add_nc_u32_e32 v2, v6, v14
	s_delay_alu instid0(VALU_DEP_1) | instskip(NEXT) | instid1(VALU_DEP_1)
	v_lshlrev_b64_e32 v[9:10], 3, v[2:3]
	v_add_co_u32 v9, vcc_lo, s20, v9
	s_wait_alu 0xfffd
	s_delay_alu instid0(VALU_DEP_2)
	v_add_co_ci_u32_e64 v10, null, s21, v10, vcc_lo
	s_wait_dscnt 0x0
	global_store_b64 v[9:10], v[7:8], off
	s_branch .LBB23_11
.LBB23_96:
	s_endpgm
.LBB23_97:
	s_load_b32 s7, s[2:3], 0x0
	v_cndmask_b32_e64 v1, 0, 1, s8
	s_and_not1_b32 vcc_lo, exec_lo, s8
	s_cbranch_vccnz .LBB23_2
.LBB23_98:
	s_load_b32 s3, s[2:3], 0x4
	s_delay_alu instid0(VALU_DEP_1)
	v_cmp_ne_u32_e32 vcc_lo, 1, v1
	s_mov_b32 s2, s12
	s_cbranch_vccz .LBB23_3
	s_branch .LBB23_4
	.section	.rodata,"a",@progbits
	.p2align	6, 0x0
	.amdhsa_kernel _ZN9rocsparseL39bsrgeam_block_per_row_multipass_kernel2ILj256ELj32E21rocsparse_complex_numIfEEEv20rocsparse_direction_iiiNS_24const_host_device_scalarIT1_EEPKiS8_PKS5_S6_S8_S8_SA_S8_PiPS5_21rocsparse_index_base_SD_SD_b
		.amdhsa_group_segment_fixed_size 8196
		.amdhsa_private_segment_fixed_size 0
		.amdhsa_kernarg_size 120
		.amdhsa_user_sgpr_count 2
		.amdhsa_user_sgpr_dispatch_ptr 0
		.amdhsa_user_sgpr_queue_ptr 0
		.amdhsa_user_sgpr_kernarg_segment_ptr 1
		.amdhsa_user_sgpr_dispatch_id 0
		.amdhsa_user_sgpr_private_segment_size 0
		.amdhsa_wavefront_size32 1
		.amdhsa_uses_dynamic_stack 0
		.amdhsa_enable_private_segment 0
		.amdhsa_system_sgpr_workgroup_id_x 1
		.amdhsa_system_sgpr_workgroup_id_y 0
		.amdhsa_system_sgpr_workgroup_id_z 0
		.amdhsa_system_sgpr_workgroup_info 0
		.amdhsa_system_vgpr_workitem_id 0
		.amdhsa_next_free_vgpr 25
		.amdhsa_next_free_sgpr 42
		.amdhsa_reserve_vcc 1
		.amdhsa_float_round_mode_32 0
		.amdhsa_float_round_mode_16_64 0
		.amdhsa_float_denorm_mode_32 3
		.amdhsa_float_denorm_mode_16_64 3
		.amdhsa_fp16_overflow 0
		.amdhsa_workgroup_processor_mode 1
		.amdhsa_memory_ordered 1
		.amdhsa_forward_progress 1
		.amdhsa_inst_pref_size 30
		.amdhsa_round_robin_scheduling 0
		.amdhsa_exception_fp_ieee_invalid_op 0
		.amdhsa_exception_fp_denorm_src 0
		.amdhsa_exception_fp_ieee_div_zero 0
		.amdhsa_exception_fp_ieee_overflow 0
		.amdhsa_exception_fp_ieee_underflow 0
		.amdhsa_exception_fp_ieee_inexact 0
		.amdhsa_exception_int_div_zero 0
	.end_amdhsa_kernel
	.section	.text._ZN9rocsparseL39bsrgeam_block_per_row_multipass_kernel2ILj256ELj32E21rocsparse_complex_numIfEEEv20rocsparse_direction_iiiNS_24const_host_device_scalarIT1_EEPKiS8_PKS5_S6_S8_S8_SA_S8_PiPS5_21rocsparse_index_base_SD_SD_b,"axG",@progbits,_ZN9rocsparseL39bsrgeam_block_per_row_multipass_kernel2ILj256ELj32E21rocsparse_complex_numIfEEEv20rocsparse_direction_iiiNS_24const_host_device_scalarIT1_EEPKiS8_PKS5_S6_S8_S8_SA_S8_PiPS5_21rocsparse_index_base_SD_SD_b,comdat
.Lfunc_end23:
	.size	_ZN9rocsparseL39bsrgeam_block_per_row_multipass_kernel2ILj256ELj32E21rocsparse_complex_numIfEEEv20rocsparse_direction_iiiNS_24const_host_device_scalarIT1_EEPKiS8_PKS5_S6_S8_S8_SA_S8_PiPS5_21rocsparse_index_base_SD_SD_b, .Lfunc_end23-_ZN9rocsparseL39bsrgeam_block_per_row_multipass_kernel2ILj256ELj32E21rocsparse_complex_numIfEEEv20rocsparse_direction_iiiNS_24const_host_device_scalarIT1_EEPKiS8_PKS5_S6_S8_S8_SA_S8_PiPS5_21rocsparse_index_base_SD_SD_b
                                        ; -- End function
	.set _ZN9rocsparseL39bsrgeam_block_per_row_multipass_kernel2ILj256ELj32E21rocsparse_complex_numIfEEEv20rocsparse_direction_iiiNS_24const_host_device_scalarIT1_EEPKiS8_PKS5_S6_S8_S8_SA_S8_PiPS5_21rocsparse_index_base_SD_SD_b.num_vgpr, 25
	.set _ZN9rocsparseL39bsrgeam_block_per_row_multipass_kernel2ILj256ELj32E21rocsparse_complex_numIfEEEv20rocsparse_direction_iiiNS_24const_host_device_scalarIT1_EEPKiS8_PKS5_S6_S8_S8_SA_S8_PiPS5_21rocsparse_index_base_SD_SD_b.num_agpr, 0
	.set _ZN9rocsparseL39bsrgeam_block_per_row_multipass_kernel2ILj256ELj32E21rocsparse_complex_numIfEEEv20rocsparse_direction_iiiNS_24const_host_device_scalarIT1_EEPKiS8_PKS5_S6_S8_S8_SA_S8_PiPS5_21rocsparse_index_base_SD_SD_b.numbered_sgpr, 42
	.set _ZN9rocsparseL39bsrgeam_block_per_row_multipass_kernel2ILj256ELj32E21rocsparse_complex_numIfEEEv20rocsparse_direction_iiiNS_24const_host_device_scalarIT1_EEPKiS8_PKS5_S6_S8_S8_SA_S8_PiPS5_21rocsparse_index_base_SD_SD_b.num_named_barrier, 0
	.set _ZN9rocsparseL39bsrgeam_block_per_row_multipass_kernel2ILj256ELj32E21rocsparse_complex_numIfEEEv20rocsparse_direction_iiiNS_24const_host_device_scalarIT1_EEPKiS8_PKS5_S6_S8_S8_SA_S8_PiPS5_21rocsparse_index_base_SD_SD_b.private_seg_size, 0
	.set _ZN9rocsparseL39bsrgeam_block_per_row_multipass_kernel2ILj256ELj32E21rocsparse_complex_numIfEEEv20rocsparse_direction_iiiNS_24const_host_device_scalarIT1_EEPKiS8_PKS5_S6_S8_S8_SA_S8_PiPS5_21rocsparse_index_base_SD_SD_b.uses_vcc, 1
	.set _ZN9rocsparseL39bsrgeam_block_per_row_multipass_kernel2ILj256ELj32E21rocsparse_complex_numIfEEEv20rocsparse_direction_iiiNS_24const_host_device_scalarIT1_EEPKiS8_PKS5_S6_S8_S8_SA_S8_PiPS5_21rocsparse_index_base_SD_SD_b.uses_flat_scratch, 0
	.set _ZN9rocsparseL39bsrgeam_block_per_row_multipass_kernel2ILj256ELj32E21rocsparse_complex_numIfEEEv20rocsparse_direction_iiiNS_24const_host_device_scalarIT1_EEPKiS8_PKS5_S6_S8_S8_SA_S8_PiPS5_21rocsparse_index_base_SD_SD_b.has_dyn_sized_stack, 0
	.set _ZN9rocsparseL39bsrgeam_block_per_row_multipass_kernel2ILj256ELj32E21rocsparse_complex_numIfEEEv20rocsparse_direction_iiiNS_24const_host_device_scalarIT1_EEPKiS8_PKS5_S6_S8_S8_SA_S8_PiPS5_21rocsparse_index_base_SD_SD_b.has_recursion, 0
	.set _ZN9rocsparseL39bsrgeam_block_per_row_multipass_kernel2ILj256ELj32E21rocsparse_complex_numIfEEEv20rocsparse_direction_iiiNS_24const_host_device_scalarIT1_EEPKiS8_PKS5_S6_S8_S8_SA_S8_PiPS5_21rocsparse_index_base_SD_SD_b.has_indirect_call, 0
	.section	.AMDGPU.csdata,"",@progbits
; Kernel info:
; codeLenInByte = 3788
; TotalNumSgprs: 44
; NumVgprs: 25
; ScratchSize: 0
; MemoryBound: 0
; FloatMode: 240
; IeeeMode: 1
; LDSByteSize: 8196 bytes/workgroup (compile time only)
; SGPRBlocks: 0
; VGPRBlocks: 3
; NumSGPRsForWavesPerEU: 44
; NumVGPRsForWavesPerEU: 25
; Occupancy: 16
; WaveLimiterHint : 1
; COMPUTE_PGM_RSRC2:SCRATCH_EN: 0
; COMPUTE_PGM_RSRC2:USER_SGPR: 2
; COMPUTE_PGM_RSRC2:TRAP_HANDLER: 0
; COMPUTE_PGM_RSRC2:TGID_X_EN: 1
; COMPUTE_PGM_RSRC2:TGID_Y_EN: 0
; COMPUTE_PGM_RSRC2:TGID_Z_EN: 0
; COMPUTE_PGM_RSRC2:TIDIG_COMP_CNT: 0
	.section	.text._ZN9rocsparseL39bsrgeam_wf_per_row_multipass_2_3_kernelILj256ELj2ELj32E21rocsparse_complex_numIdEEEv20rocsparse_direction_iiiNS_24const_host_device_scalarIT2_EEPKiS8_PKS5_S6_S8_S8_SA_S8_PiPS5_21rocsparse_index_base_SD_SD_b,"axG",@progbits,_ZN9rocsparseL39bsrgeam_wf_per_row_multipass_2_3_kernelILj256ELj2ELj32E21rocsparse_complex_numIdEEEv20rocsparse_direction_iiiNS_24const_host_device_scalarIT2_EEPKiS8_PKS5_S6_S8_S8_SA_S8_PiPS5_21rocsparse_index_base_SD_SD_b,comdat
	.globl	_ZN9rocsparseL39bsrgeam_wf_per_row_multipass_2_3_kernelILj256ELj2ELj32E21rocsparse_complex_numIdEEEv20rocsparse_direction_iiiNS_24const_host_device_scalarIT2_EEPKiS8_PKS5_S6_S8_S8_SA_S8_PiPS5_21rocsparse_index_base_SD_SD_b ; -- Begin function _ZN9rocsparseL39bsrgeam_wf_per_row_multipass_2_3_kernelILj256ELj2ELj32E21rocsparse_complex_numIdEEEv20rocsparse_direction_iiiNS_24const_host_device_scalarIT2_EEPKiS8_PKS5_S6_S8_S8_SA_S8_PiPS5_21rocsparse_index_base_SD_SD_b
	.p2align	8
	.type	_ZN9rocsparseL39bsrgeam_wf_per_row_multipass_2_3_kernelILj256ELj2ELj32E21rocsparse_complex_numIdEEEv20rocsparse_direction_iiiNS_24const_host_device_scalarIT2_EEPKiS8_PKS5_S6_S8_S8_SA_S8_PiPS5_21rocsparse_index_base_SD_SD_b,@function
_ZN9rocsparseL39bsrgeam_wf_per_row_multipass_2_3_kernelILj256ELj2ELj32E21rocsparse_complex_numIdEEEv20rocsparse_direction_iiiNS_24const_host_device_scalarIT2_EEPKiS8_PKS5_S6_S8_S8_SA_S8_PiPS5_21rocsparse_index_base_SD_SD_b: ; @_ZN9rocsparseL39bsrgeam_wf_per_row_multipass_2_3_kernelILj256ELj2ELj32E21rocsparse_complex_numIdEEEv20rocsparse_direction_iiiNS_24const_host_device_scalarIT2_EEPKiS8_PKS5_S6_S8_S8_SA_S8_PiPS5_21rocsparse_index_base_SD_SD_b
; %bb.0:
	s_clause 0x1
	s_load_b128 s[4:7], s[0:1], 0x78
	s_load_b128 s[8:11], s[0:1], 0x10
	s_mov_b64 s[2:3], src_private_base
	s_wait_kmcnt 0x0
	s_bitcmp1_b32 s7, 0
	v_dual_mov_b32 v1, s8 :: v_dual_mov_b32 v2, s9
	s_cselect_b32 s2, -1, 0
	v_dual_mov_b32 v16, s11 :: v_dual_mov_b32 v15, s10
	s_and_b32 vcc_lo, s2, exec_lo
	s_cselect_b32 s7, 0, s8
	s_cselect_b32 s3, s3, s9
	s_delay_alu instid0(SALU_CYCLE_1)
	v_dual_mov_b32 v3, s7 :: v_dual_mov_b32 v4, s3
	scratch_store_b64 off, v[1:2], off
	flat_load_b64 v[13:14], v[3:4]
	s_cbranch_vccnz .LBB24_2
; %bb.1:
	v_dual_mov_b32 v1, s8 :: v_dual_mov_b32 v2, s9
	flat_load_b64 v[15:16], v[1:2] offset:8
.LBB24_2:
	s_load_b96 s[24:26], s[0:1], 0x0
	v_lshrrev_b32_e32 v11, 5, v0
	s_lshl_b32 s3, ttmp9, 3
	s_wait_alu 0xfffe
	s_delay_alu instid0(VALU_DEP_1) | instskip(SKIP_2) | instid1(VALU_DEP_1)
	v_and_or_b32 v1, 0x7fffff8, s3, v11
	s_mov_b32 s3, exec_lo
	s_wait_kmcnt 0x0
	v_cmpx_gt_i32_e64 s25, v1
	s_cbranch_execz .LBB24_37
; %bb.3:
	s_clause 0x3
	s_load_b64 s[16:17], s[0:1], 0x38
	s_load_b128 s[8:11], s[0:1], 0x20
	s_load_b128 s[12:15], s[0:1], 0x48
	s_load_b64 s[18:19], s[0:1], 0x60
	s_add_nc_u64 s[20:21], s[0:1], 56
	s_and_b32 s2, s2, exec_lo
	s_wait_kmcnt 0x0
	s_cselect_b32 s2, s21, s17
	s_wait_alu 0xfffe
	v_dual_mov_b32 v2, s2 :: v_dual_lshlrev_b32 v5, 2, v1
	s_cselect_b32 s3, s20, s16
	s_wait_alu 0xfffe
	v_mov_b32_e32 v1, s3
	global_load_b64 v[9:10], v5, s[8:9]
	flat_load_b128 v[1:4], v[1:2]
	s_clause 0x1
	global_load_b64 v[7:8], v5, s[12:13]
	global_load_b32 v12, v5, s[18:19]
	s_wait_loadcnt 0x3
	v_subrev_nc_u32_e32 v5, s4, v9
	v_cmp_lt_i32_e32 vcc_lo, v9, v10
	v_mov_b32_e32 v9, s26
	s_and_saveexec_b32 s2, vcc_lo
	s_cbranch_execz .LBB24_5
; %bb.4:
	v_ashrrev_i32_e32 v6, 31, v5
	s_delay_alu instid0(VALU_DEP_1) | instskip(NEXT) | instid1(VALU_DEP_1)
	v_lshlrev_b64_e32 v[17:18], 2, v[5:6]
	v_add_co_u32 v17, vcc_lo, s10, v17
	s_delay_alu instid0(VALU_DEP_1)
	v_add_co_ci_u32_e64 v18, null, s11, v18, vcc_lo
	global_load_b32 v6, v[17:18], off
	s_wait_loadcnt 0x0
	v_subrev_nc_u32_e32 v9, s4, v6
.LBB24_5:
	s_wait_alu 0xfffe
	s_or_b32 exec_lo, exec_lo, s2
	s_clause 0x2
	s_load_b128 s[16:19], s[0:1], 0x68
	s_load_b64 s[2:3], s[0:1], 0x58
	s_load_b64 s[8:9], s[0:1], 0x30
	s_wait_loadcnt 0x1
	v_subrev_nc_u32_e32 v6, s5, v7
	v_cmp_lt_i32_e32 vcc_lo, v7, v8
	v_mov_b32_e32 v7, s26
	s_and_saveexec_b32 s0, vcc_lo
	s_cbranch_execz .LBB24_7
; %bb.6:
	v_ashrrev_i32_e32 v7, 31, v6
	s_delay_alu instid0(VALU_DEP_1) | instskip(NEXT) | instid1(VALU_DEP_1)
	v_lshlrev_b64_e32 v[17:18], 2, v[6:7]
	v_add_co_u32 v17, vcc_lo, s14, v17
	s_wait_alu 0xfffd
	s_delay_alu instid0(VALU_DEP_2)
	v_add_co_ci_u32_e64 v18, null, s15, v18, vcc_lo
	global_load_b32 v7, v[17:18], off
	s_wait_loadcnt 0x0
	v_subrev_nc_u32_e32 v7, s5, v7
.LBB24_7:
	s_or_b32 exec_lo, exec_lo, s0
	s_movk_i32 s0, 0xe0
	v_subrev_nc_u32_e32 v27, s4, v10
	v_and_or_b32 v26, v0, s0, 0x4000
	v_and_b32_e32 v10, 31, v0
	v_subrev_nc_u32_e32 v0, s5, v8
	v_mbcnt_lo_u32_b32 v8, -1, 0
	s_wait_loadcnt 0x0
	v_subrev_nc_u32_e32 v28, s6, v12
	v_min_i32_e32 v33, v7, v9
	v_add_nc_u32_e32 v17, v5, v10
	s_mov_b32 s20, 0
	v_xor_b32_e32 v5, 16, v8
	v_xor_b32_e32 v12, 1, v8
	v_lshlrev_b32_e32 v25, 11, v11
	v_xor_b32_e32 v11, 2, v8
	v_xor_b32_e32 v9, 4, v8
	v_cmp_gt_i32_e32 vcc_lo, 32, v5
	s_mov_b32 s21, s20
	s_mov_b32 s22, s20
	s_mov_b32 s23, s20
	s_cmp_lg_u32 s24, 0
	s_wait_alu 0xfffd
	v_cndmask_b32_e32 v5, v8, v5, vcc_lo
	v_dual_mov_b32 v22, 0 :: v_dual_add_nc_u32 v19, v6, v10
	v_xor_b32_e32 v6, 31, v10
	s_cselect_b32 s1, -1, 0
	s_delay_alu instid0(VALU_DEP_3)
	v_lshlrev_b32_e32 v32, 2, v5
	v_xor_b32_e32 v5, 8, v8
	s_cmp_eq_u32 s24, 0
	v_lshrrev_b32_e64 v30, v6, -1
	v_add_nc_u32_e32 v31, s6, v10
	v_add_nc_u32_e32 v41, v26, v10
	v_cmp_gt_i32_e32 vcc_lo, 32, v5
	s_wait_alu 0xfffd
	v_dual_mov_b32 v42, 1 :: v_dual_cndmask_b32 v5, v8, v5
	v_cmp_gt_i32_e32 vcc_lo, 32, v9
	s_wait_alu 0xfffd
	v_cndmask_b32_e32 v9, v8, v9, vcc_lo
	v_cmp_gt_i32_e32 vcc_lo, 32, v11
	s_wait_alu 0xfffd
	v_cndmask_b32_e32 v11, v8, v11, vcc_lo
	v_cmp_gt_i32_e32 vcc_lo, 32, v12
	s_wait_alu 0xfffd
	s_delay_alu instid0(VALU_DEP_2) | instskip(SKIP_2) | instid1(VALU_DEP_2)
	v_dual_cndmask_b32 v8, v8, v12 :: v_dual_lshlrev_b32 v37, 2, v11
	v_lshl_or_b32 v29, v10, 6, v25
	s_cselect_b32 vcc_lo, -1, 0
	v_lshlrev_b32_e32 v38, 2, v8
	s_delay_alu instid0(VALU_DEP_2) | instskip(SKIP_4) | instid1(VALU_DEP_3)
	v_or_b32_e32 v6, 16, v29
	v_or_b32_e32 v7, 32, v29
	v_lshlrev_b32_e32 v35, 2, v5
	v_or_b32_e32 v34, 48, v29
	s_wait_alu 0xfffe
	v_dual_cndmask_b32 v39, v7, v6 :: v_dual_cndmask_b32 v40, v6, v7
	v_dual_mov_b32 v5, s20 :: v_dual_mov_b32 v6, s21
	v_dual_mov_b32 v7, s22 :: v_dual_mov_b32 v8, s23
	v_lshlrev_b32_e32 v36, 2, v9
	s_branch .LBB24_9
.LBB24_8:                               ;   in Loop: Header=BB24_9 Depth=1
	s_wait_alu 0xfffe
	s_or_b32 exec_lo, exec_lo, s6
	ds_bpermute_b32 v9, v32, v43
	s_bcnt1_i32_b32 s6, vcc_lo
	s_wait_alu 0xfffe
	v_add_nc_u32_e32 v28, s6, v28
	s_wait_dscnt 0x0
	v_min_i32_e32 v9, v9, v43
	ds_bpermute_b32 v10, v35, v9
	s_wait_dscnt 0x0
	v_min_i32_e32 v9, v10, v9
	ds_bpermute_b32 v10, v36, v9
	;; [unrolled: 3-line block ×4, first 2 shown]
	s_wait_dscnt 0x0
	v_min_i32_e32 v33, v10, v9
	s_delay_alu instid0(VALU_DEP_1)
	v_cmp_le_i32_e64 s0, s26, v33
	s_or_b32 s20, s0, s20
	s_wait_alu 0xfffe
	s_and_not1_b32 exec_lo, exec_lo, s20
	s_cbranch_execz .LBB24_37
.LBB24_9:                               ; =>This Loop Header: Depth=1
                                        ;     Child Loop BB24_12 Depth 2
                                        ;     Child Loop BB24_25 Depth 2
	v_mov_b32_e32 v43, s26
	s_mov_b32 s6, exec_lo
	ds_store_b8 v41, v22
	ds_store_b128 v29, v[5:8]
	ds_store_b128 v29, v[5:8] offset:16
	ds_store_b128 v29, v[5:8] offset:32
	;; [unrolled: 1-line block ×3, first 2 shown]
	s_wait_storecnt_dscnt 0x0
	global_inv scope:SCOPE_SE
	v_cmpx_lt_i32_e64 v17, v27
	s_cbranch_execz .LBB24_22
; %bb.10:                               ;   in Loop: Header=BB24_9 Depth=1
	v_lshlrev_b32_e32 v21, 2, v17
	v_mov_b32_e32 v43, s26
	s_mov_b32 s7, 0
	s_branch .LBB24_12
.LBB24_11:                              ;   in Loop: Header=BB24_12 Depth=2
	s_or_b32 exec_lo, exec_lo, s13
	s_delay_alu instid0(SALU_CYCLE_1)
	s_and_b32 s0, exec_lo, s12
	s_wait_alu 0xfffe
	s_or_b32 s7, s0, s7
	s_wait_alu 0xfffe
	s_and_not1_b32 exec_lo, exec_lo, s7
	s_cbranch_execz .LBB24_21
.LBB24_12:                              ;   Parent Loop BB24_9 Depth=1
                                        ; =>  This Inner Loop Header: Depth=2
	v_ashrrev_i32_e32 v18, 31, v17
	s_mov_b32 s12, exec_lo
	s_delay_alu instid0(VALU_DEP_1) | instskip(NEXT) | instid1(VALU_DEP_1)
	v_lshlrev_b64_e32 v[9:10], 2, v[17:18]
	v_add_co_u32 v9, vcc_lo, s10, v9
	s_wait_alu 0xfffd
	s_delay_alu instid0(VALU_DEP_2) | instskip(SKIP_3) | instid1(VALU_DEP_1)
	v_add_co_ci_u32_e64 v10, null, s11, v10, vcc_lo
	global_load_b32 v9, v[9:10], off
	s_wait_loadcnt 0x0
	v_subrev_nc_u32_e32 v9, s4, v9
	v_sub_nc_u32_e32 v11, v9, v33
	s_delay_alu instid0(VALU_DEP_1)
	v_cmp_gt_u32_e64 s0, 32, v11
	v_cmpx_lt_u32_e32 31, v11
	s_xor_b32 s12, exec_lo, s12
; %bb.13:                               ;   in Loop: Header=BB24_12 Depth=2
	v_min_i32_e32 v43, v9, v43
                                        ; implicit-def: $vgpr11
; %bb.14:                               ;   in Loop: Header=BB24_12 Depth=2
	s_and_not1_saveexec_b32 s12, s12
	s_cbranch_execz .LBB24_19
; %bb.15:                               ;   in Loop: Header=BB24_12 Depth=2
	v_lshlrev_b64_e32 v[9:10], 4, v[21:22]
	v_lshlrev_b32_e32 v12, 6, v11
	v_add_nc_u32_e32 v18, v26, v11
	s_mov_b32 s13, -1
	s_delay_alu instid0(VALU_DEP_2)
	v_add_nc_u32_e32 v11, v25, v12
	s_wait_kmcnt 0x0
	v_add_co_u32 v9, vcc_lo, s8, v9
	s_wait_alu 0xfffd
	v_add_co_ci_u32_e64 v10, null, s9, v10, vcc_lo
	s_and_not1_b32 vcc_lo, exec_lo, s1
	global_load_b128 v[44:47], v[9:10], off
	s_wait_loadcnt 0x0
	v_mul_f64_e64 v[23:24], v[46:47], -v[15:16]
	v_mul_f64_e32 v[48:49], v[13:14], v[46:47]
	s_delay_alu instid0(VALU_DEP_2) | instskip(NEXT) | instid1(VALU_DEP_2)
	v_fma_f64 v[46:47], v[13:14], v[44:45], v[23:24]
	v_fma_f64 v[48:49], v[15:16], v[44:45], v[48:49]
	ds_store_b8 v18, v42
	ds_store_b128 v11, v[46:49]
	s_wait_alu 0xfffe
	s_cbranch_vccnz .LBB24_17
; %bb.16:                               ;   in Loop: Header=BB24_12 Depth=2
	s_clause 0x2
	global_load_b128 v[44:47], v[9:10], off offset:32
	global_load_b128 v[48:51], v[9:10], off offset:16
	;; [unrolled: 1-line block ×3, first 2 shown]
	s_mov_b32 s13, 0
	s_wait_loadcnt 0x2
	v_mul_f64_e64 v[23:24], v[46:47], -v[15:16]
	v_mul_f64_e32 v[46:47], v[13:14], v[46:47]
	s_wait_loadcnt 0x1
	v_mul_f64_e64 v[58:59], v[50:51], -v[15:16]
	v_mul_f64_e32 v[50:51], v[13:14], v[50:51]
	;; [unrolled: 3-line block ×3, first 2 shown]
	v_fma_f64 v[54:55], v[13:14], v[44:45], v[23:24]
	v_fma_f64 v[56:57], v[15:16], v[44:45], v[46:47]
	;; [unrolled: 1-line block ×6, first 2 shown]
	ds_store_b128 v11, v[54:57] offset:16
	ds_store_b128 v11, v[44:47] offset:32
	;; [unrolled: 1-line block ×3, first 2 shown]
.LBB24_17:                              ;   in Loop: Header=BB24_12 Depth=2
	s_and_not1_b32 vcc_lo, exec_lo, s13
	s_wait_alu 0xfffe
	s_cbranch_vccnz .LBB24_19
; %bb.18:                               ;   in Loop: Header=BB24_12 Depth=2
	s_clause 0x2
	global_load_b128 v[44:47], v[9:10], off offset:16
	global_load_b128 v[48:51], v[9:10], off offset:32
	;; [unrolled: 1-line block ×3, first 2 shown]
	s_wait_loadcnt 0x2
	v_mul_f64_e64 v[9:10], v[46:47], -v[15:16]
	v_mul_f64_e32 v[23:24], v[13:14], v[46:47]
	s_wait_loadcnt 0x1
	v_mul_f64_e64 v[46:47], v[50:51], -v[15:16]
	v_mul_f64_e32 v[50:51], v[13:14], v[50:51]
	;; [unrolled: 3-line block ×3, first 2 shown]
	v_fma_f64 v[54:55], v[13:14], v[44:45], v[9:10]
	v_fma_f64 v[56:57], v[15:16], v[44:45], v[23:24]
	;; [unrolled: 1-line block ×6, first 2 shown]
	ds_store_b128 v11, v[54:57] offset:16
	ds_store_b128 v11, v[44:47] offset:32
	ds_store_b128 v11, v[48:51] offset:48
.LBB24_19:                              ;   in Loop: Header=BB24_12 Depth=2
	s_or_b32 exec_lo, exec_lo, s12
	s_mov_b32 s12, -1
	s_and_saveexec_b32 s13, s0
	s_cbranch_execz .LBB24_11
; %bb.20:                               ;   in Loop: Header=BB24_12 Depth=2
	v_add_nc_u32_e32 v17, 32, v17
	v_add_nc_u32_e32 v21, 0x80, v21
	s_delay_alu instid0(VALU_DEP_2)
	v_cmp_ge_i32_e32 vcc_lo, v17, v27
	s_or_not1_b32 s12, vcc_lo, exec_lo
	s_branch .LBB24_11
.LBB24_21:                              ;   in Loop: Header=BB24_9 Depth=1
	s_or_b32 exec_lo, exec_lo, s7
.LBB24_22:                              ;   in Loop: Header=BB24_9 Depth=1
	s_wait_alu 0xfffe
	s_or_b32 exec_lo, exec_lo, s6
	s_delay_alu instid0(SALU_CYCLE_1)
	s_mov_b32 s6, exec_lo
	s_wait_loadcnt_dscnt 0x0
	global_inv scope:SCOPE_SE
	v_cmpx_lt_i32_e64 v19, v0
	s_cbranch_execz .LBB24_35
; %bb.23:                               ;   in Loop: Header=BB24_9 Depth=1
	v_lshlrev_b32_e32 v21, 2, v19
	s_mov_b32 s7, 0
	s_branch .LBB24_25
.LBB24_24:                              ;   in Loop: Header=BB24_25 Depth=2
	s_or_b32 exec_lo, exec_lo, s13
	s_delay_alu instid0(SALU_CYCLE_1)
	s_and_b32 s0, exec_lo, s12
	s_wait_alu 0xfffe
	s_or_b32 s7, s0, s7
	s_wait_alu 0xfffe
	s_and_not1_b32 exec_lo, exec_lo, s7
	s_cbranch_execz .LBB24_34
.LBB24_25:                              ;   Parent Loop BB24_9 Depth=1
                                        ; =>  This Inner Loop Header: Depth=2
	v_ashrrev_i32_e32 v20, 31, v19
	s_mov_b32 s12, exec_lo
	s_wait_dscnt 0x2
	s_delay_alu instid0(VALU_DEP_1) | instskip(NEXT) | instid1(VALU_DEP_1)
	v_lshlrev_b64_e32 v[9:10], 2, v[19:20]
	v_add_co_u32 v9, vcc_lo, s14, v9
	s_wait_alu 0xfffd
	s_delay_alu instid0(VALU_DEP_2) | instskip(SKIP_3) | instid1(VALU_DEP_1)
	v_add_co_ci_u32_e64 v10, null, s15, v10, vcc_lo
	global_load_b32 v9, v[9:10], off
	s_wait_loadcnt 0x0
	v_subrev_nc_u32_e32 v9, s5, v9
	v_sub_nc_u32_e32 v20, v9, v33
	s_delay_alu instid0(VALU_DEP_1)
	v_cmp_gt_u32_e64 s0, 32, v20
	v_cmpx_lt_u32_e32 31, v20
	s_xor_b32 s12, exec_lo, s12
; %bb.26:                               ;   in Loop: Header=BB24_25 Depth=2
	v_min_i32_e32 v43, v9, v43
                                        ; implicit-def: $vgpr20
; %bb.27:                               ;   in Loop: Header=BB24_25 Depth=2
	s_and_not1_saveexec_b32 s12, s12
	s_cbranch_execz .LBB24_32
; %bb.28:                               ;   in Loop: Header=BB24_25 Depth=2
	v_lshlrev_b64_e32 v[9:10], 4, v[21:22]
	s_mov_b32 s13, -1
	s_wait_kmcnt 0x0
	s_delay_alu instid0(VALU_DEP_1) | instskip(SKIP_1) | instid1(VALU_DEP_2)
	v_add_co_u32 v23, vcc_lo, s2, v9
	s_wait_alu 0xfffd
	v_add_co_ci_u32_e64 v24, null, s3, v10, vcc_lo
	v_lshlrev_b32_e32 v9, 6, v20
	v_add_nc_u32_e32 v20, v26, v20
	s_and_not1_b32 vcc_lo, exec_lo, s1
	global_load_b128 v[44:47], v[23:24], off
	v_add_nc_u32_e32 v18, v25, v9
	ds_load_b128 v[48:51], v18
	ds_load_b128 v[9:12], v18 offset:16
	s_wait_loadcnt_dscnt 0x1
	v_fma_f64 v[48:49], v[1:2], v[44:45], v[48:49]
	v_fma_f64 v[50:51], v[3:4], v[44:45], v[50:51]
	s_delay_alu instid0(VALU_DEP_2) | instskip(NEXT) | instid1(VALU_DEP_2)
	v_fma_f64 v[44:45], -v[3:4], v[46:47], v[48:49]
	v_fma_f64 v[46:47], v[1:2], v[46:47], v[50:51]
	ds_store_b8 v20, v42
	ds_store_b128 v18, v[44:47]
	s_wait_alu 0xfffe
	s_cbranch_vccnz .LBB24_30
; %bb.29:                               ;   in Loop: Header=BB24_25 Depth=2
	s_clause 0x2
	global_load_b128 v[44:47], v[23:24], off offset:32
	global_load_b128 v[48:51], v[23:24], off offset:16
	;; [unrolled: 1-line block ×3, first 2 shown]
	ds_load_b128 v[56:59], v18 offset:32
	ds_load_b128 v[60:63], v18 offset:48
	s_mov_b32 s13, 0
	s_wait_loadcnt_dscnt 0x204
	v_fma_f64 v[64:65], v[1:2], v[44:45], v[9:10]
	v_fma_f64 v[66:67], v[3:4], v[44:45], v[11:12]
	s_wait_loadcnt_dscnt 0x101
	v_fma_f64 v[56:57], v[1:2], v[48:49], v[56:57]
	v_fma_f64 v[58:59], v[3:4], v[48:49], v[58:59]
	;; [unrolled: 3-line block ×3, first 2 shown]
	v_fma_f64 v[44:45], -v[3:4], v[46:47], v[64:65]
	v_fma_f64 v[46:47], v[1:2], v[46:47], v[66:67]
	v_fma_f64 v[48:49], -v[3:4], v[50:51], v[56:57]
	v_fma_f64 v[50:51], v[1:2], v[50:51], v[58:59]
	;; [unrolled: 2-line block ×3, first 2 shown]
	ds_store_b128 v18, v[44:47] offset:16
	ds_store_b128 v18, v[48:51] offset:32
	;; [unrolled: 1-line block ×3, first 2 shown]
.LBB24_30:                              ;   in Loop: Header=BB24_25 Depth=2
	s_and_not1_b32 vcc_lo, exec_lo, s13
	s_wait_alu 0xfffe
	s_cbranch_vccnz .LBB24_32
; %bb.31:                               ;   in Loop: Header=BB24_25 Depth=2
	s_clause 0x2
	global_load_b128 v[44:47], v[23:24], off offset:16
	global_load_b128 v[48:51], v[23:24], off offset:32
	;; [unrolled: 1-line block ×3, first 2 shown]
	ds_load_b128 v[56:59], v18 offset:32
	ds_load_b128 v[60:63], v18 offset:48
	s_wait_loadcnt_dscnt 0x204
	v_fma_f64 v[9:10], v[1:2], v[44:45], v[9:10]
	v_fma_f64 v[11:12], v[3:4], v[44:45], v[11:12]
	s_wait_loadcnt_dscnt 0x101
	v_fma_f64 v[23:24], v[1:2], v[48:49], v[56:57]
	v_fma_f64 v[48:49], v[3:4], v[48:49], v[58:59]
	;; [unrolled: 3-line block ×3, first 2 shown]
	v_fma_f64 v[9:10], -v[3:4], v[46:47], v[9:10]
	v_fma_f64 v[11:12], v[1:2], v[46:47], v[11:12]
	v_fma_f64 v[44:45], -v[3:4], v[50:51], v[23:24]
	v_fma_f64 v[46:47], v[1:2], v[50:51], v[48:49]
	;; [unrolled: 2-line block ×3, first 2 shown]
	ds_store_b128 v18, v[9:12] offset:16
	ds_store_b128 v18, v[44:47] offset:32
	ds_store_b128 v18, v[48:51] offset:48
.LBB24_32:                              ;   in Loop: Header=BB24_25 Depth=2
	s_or_b32 exec_lo, exec_lo, s12
	s_mov_b32 s12, -1
	s_and_saveexec_b32 s13, s0
	s_cbranch_execz .LBB24_24
; %bb.33:                               ;   in Loop: Header=BB24_25 Depth=2
	v_add_nc_u32_e32 v19, 32, v19
	v_add_nc_u32_e32 v21, 0x80, v21
	s_delay_alu instid0(VALU_DEP_2)
	v_cmp_ge_i32_e32 vcc_lo, v19, v0
	s_or_not1_b32 s12, vcc_lo, exec_lo
	s_branch .LBB24_24
.LBB24_34:                              ;   in Loop: Header=BB24_9 Depth=1
	s_or_b32 exec_lo, exec_lo, s7
.LBB24_35:                              ;   in Loop: Header=BB24_9 Depth=1
	s_wait_alu 0xfffe
	s_or_b32 exec_lo, exec_lo, s6
	s_wait_loadcnt_dscnt 0x0
	global_inv scope:SCOPE_SE
	ds_load_u8 v9, v41
	s_mov_b32 s6, exec_lo
	s_wait_dscnt 0x0
	v_and_b32_e32 v10, 1, v9
	v_cmp_ne_u16_e32 vcc_lo, 0, v9
	s_delay_alu instid0(VALU_DEP_2)
	v_cmpx_eq_u32_e32 1, v10
	s_cbranch_execz .LBB24_8
; %bb.36:                               ;   in Loop: Header=BB24_9 Depth=1
	s_wait_alu 0xfffd
	v_and_b32_e32 v9, vcc_lo, v30
	v_add_nc_u32_e32 v18, v31, v33
	s_delay_alu instid0(VALU_DEP_2) | instskip(NEXT) | instid1(VALU_DEP_1)
	v_bcnt_u32_b32 v9, v9, 0
	v_add3_u32 v23, v28, v9, -1
	ds_load_2addr_b64 v[9:12], v39 offset1:1
	ds_load_2addr_b64 v[44:47], v40 offset1:1
	;; [unrolled: 1-line block ×4, first 2 shown]
	v_ashrrev_i32_e32 v24, 31, v23
	v_lshlrev_b32_e32 v21, 2, v23
	s_delay_alu instid0(VALU_DEP_2) | instskip(NEXT) | instid1(VALU_DEP_2)
	v_lshlrev_b64_e32 v[23:24], 2, v[23:24]
	v_lshlrev_b64_e32 v[20:21], 4, v[21:22]
	s_wait_kmcnt 0x0
	s_delay_alu instid0(VALU_DEP_2) | instskip(SKIP_1) | instid1(VALU_DEP_3)
	v_add_co_u32 v23, s0, s16, v23
	s_wait_alu 0xf1ff
	v_add_co_ci_u32_e64 v24, null, s17, v24, s0
	s_delay_alu instid0(VALU_DEP_3)
	v_add_co_u32 v20, s0, s18, v20
	s_wait_alu 0xf1ff
	v_add_co_ci_u32_e64 v21, null, s19, v21, s0
	global_store_b32 v[23:24], v18, off
	s_wait_dscnt 0x1
	s_clause 0x2
	global_store_b128 v[20:21], v[48:51], off
	global_store_b128 v[20:21], v[9:12], off offset:16
	global_store_b128 v[20:21], v[44:47], off offset:32
	s_wait_dscnt 0x0
	global_store_b128 v[20:21], v[52:55], off offset:48
	s_branch .LBB24_8
.LBB24_37:
	s_endpgm
	.section	.rodata,"a",@progbits
	.p2align	6, 0x0
	.amdhsa_kernel _ZN9rocsparseL39bsrgeam_wf_per_row_multipass_2_3_kernelILj256ELj2ELj32E21rocsparse_complex_numIdEEEv20rocsparse_direction_iiiNS_24const_host_device_scalarIT2_EEPKiS8_PKS5_S6_S8_S8_SA_S8_PiPS5_21rocsparse_index_base_SD_SD_b
		.amdhsa_group_segment_fixed_size 16640
		.amdhsa_private_segment_fixed_size 16
		.amdhsa_kernarg_size 136
		.amdhsa_user_sgpr_count 2
		.amdhsa_user_sgpr_dispatch_ptr 0
		.amdhsa_user_sgpr_queue_ptr 0
		.amdhsa_user_sgpr_kernarg_segment_ptr 1
		.amdhsa_user_sgpr_dispatch_id 0
		.amdhsa_user_sgpr_private_segment_size 0
		.amdhsa_wavefront_size32 1
		.amdhsa_uses_dynamic_stack 0
		.amdhsa_enable_private_segment 1
		.amdhsa_system_sgpr_workgroup_id_x 1
		.amdhsa_system_sgpr_workgroup_id_y 0
		.amdhsa_system_sgpr_workgroup_id_z 0
		.amdhsa_system_sgpr_workgroup_info 0
		.amdhsa_system_vgpr_workitem_id 0
		.amdhsa_next_free_vgpr 68
		.amdhsa_next_free_sgpr 27
		.amdhsa_reserve_vcc 1
		.amdhsa_float_round_mode_32 0
		.amdhsa_float_round_mode_16_64 0
		.amdhsa_float_denorm_mode_32 3
		.amdhsa_float_denorm_mode_16_64 3
		.amdhsa_fp16_overflow 0
		.amdhsa_workgroup_processor_mode 1
		.amdhsa_memory_ordered 1
		.amdhsa_forward_progress 1
		.amdhsa_inst_pref_size 22
		.amdhsa_round_robin_scheduling 0
		.amdhsa_exception_fp_ieee_invalid_op 0
		.amdhsa_exception_fp_denorm_src 0
		.amdhsa_exception_fp_ieee_div_zero 0
		.amdhsa_exception_fp_ieee_overflow 0
		.amdhsa_exception_fp_ieee_underflow 0
		.amdhsa_exception_fp_ieee_inexact 0
		.amdhsa_exception_int_div_zero 0
	.end_amdhsa_kernel
	.section	.text._ZN9rocsparseL39bsrgeam_wf_per_row_multipass_2_3_kernelILj256ELj2ELj32E21rocsparse_complex_numIdEEEv20rocsparse_direction_iiiNS_24const_host_device_scalarIT2_EEPKiS8_PKS5_S6_S8_S8_SA_S8_PiPS5_21rocsparse_index_base_SD_SD_b,"axG",@progbits,_ZN9rocsparseL39bsrgeam_wf_per_row_multipass_2_3_kernelILj256ELj2ELj32E21rocsparse_complex_numIdEEEv20rocsparse_direction_iiiNS_24const_host_device_scalarIT2_EEPKiS8_PKS5_S6_S8_S8_SA_S8_PiPS5_21rocsparse_index_base_SD_SD_b,comdat
.Lfunc_end24:
	.size	_ZN9rocsparseL39bsrgeam_wf_per_row_multipass_2_3_kernelILj256ELj2ELj32E21rocsparse_complex_numIdEEEv20rocsparse_direction_iiiNS_24const_host_device_scalarIT2_EEPKiS8_PKS5_S6_S8_S8_SA_S8_PiPS5_21rocsparse_index_base_SD_SD_b, .Lfunc_end24-_ZN9rocsparseL39bsrgeam_wf_per_row_multipass_2_3_kernelILj256ELj2ELj32E21rocsparse_complex_numIdEEEv20rocsparse_direction_iiiNS_24const_host_device_scalarIT2_EEPKiS8_PKS5_S6_S8_S8_SA_S8_PiPS5_21rocsparse_index_base_SD_SD_b
                                        ; -- End function
	.set _ZN9rocsparseL39bsrgeam_wf_per_row_multipass_2_3_kernelILj256ELj2ELj32E21rocsparse_complex_numIdEEEv20rocsparse_direction_iiiNS_24const_host_device_scalarIT2_EEPKiS8_PKS5_S6_S8_S8_SA_S8_PiPS5_21rocsparse_index_base_SD_SD_b.num_vgpr, 68
	.set _ZN9rocsparseL39bsrgeam_wf_per_row_multipass_2_3_kernelILj256ELj2ELj32E21rocsparse_complex_numIdEEEv20rocsparse_direction_iiiNS_24const_host_device_scalarIT2_EEPKiS8_PKS5_S6_S8_S8_SA_S8_PiPS5_21rocsparse_index_base_SD_SD_b.num_agpr, 0
	.set _ZN9rocsparseL39bsrgeam_wf_per_row_multipass_2_3_kernelILj256ELj2ELj32E21rocsparse_complex_numIdEEEv20rocsparse_direction_iiiNS_24const_host_device_scalarIT2_EEPKiS8_PKS5_S6_S8_S8_SA_S8_PiPS5_21rocsparse_index_base_SD_SD_b.numbered_sgpr, 27
	.set _ZN9rocsparseL39bsrgeam_wf_per_row_multipass_2_3_kernelILj256ELj2ELj32E21rocsparse_complex_numIdEEEv20rocsparse_direction_iiiNS_24const_host_device_scalarIT2_EEPKiS8_PKS5_S6_S8_S8_SA_S8_PiPS5_21rocsparse_index_base_SD_SD_b.num_named_barrier, 0
	.set _ZN9rocsparseL39bsrgeam_wf_per_row_multipass_2_3_kernelILj256ELj2ELj32E21rocsparse_complex_numIdEEEv20rocsparse_direction_iiiNS_24const_host_device_scalarIT2_EEPKiS8_PKS5_S6_S8_S8_SA_S8_PiPS5_21rocsparse_index_base_SD_SD_b.private_seg_size, 16
	.set _ZN9rocsparseL39bsrgeam_wf_per_row_multipass_2_3_kernelILj256ELj2ELj32E21rocsparse_complex_numIdEEEv20rocsparse_direction_iiiNS_24const_host_device_scalarIT2_EEPKiS8_PKS5_S6_S8_S8_SA_S8_PiPS5_21rocsparse_index_base_SD_SD_b.uses_vcc, 1
	.set _ZN9rocsparseL39bsrgeam_wf_per_row_multipass_2_3_kernelILj256ELj2ELj32E21rocsparse_complex_numIdEEEv20rocsparse_direction_iiiNS_24const_host_device_scalarIT2_EEPKiS8_PKS5_S6_S8_S8_SA_S8_PiPS5_21rocsparse_index_base_SD_SD_b.uses_flat_scratch, 0
	.set _ZN9rocsparseL39bsrgeam_wf_per_row_multipass_2_3_kernelILj256ELj2ELj32E21rocsparse_complex_numIdEEEv20rocsparse_direction_iiiNS_24const_host_device_scalarIT2_EEPKiS8_PKS5_S6_S8_S8_SA_S8_PiPS5_21rocsparse_index_base_SD_SD_b.has_dyn_sized_stack, 0
	.set _ZN9rocsparseL39bsrgeam_wf_per_row_multipass_2_3_kernelILj256ELj2ELj32E21rocsparse_complex_numIdEEEv20rocsparse_direction_iiiNS_24const_host_device_scalarIT2_EEPKiS8_PKS5_S6_S8_S8_SA_S8_PiPS5_21rocsparse_index_base_SD_SD_b.has_recursion, 0
	.set _ZN9rocsparseL39bsrgeam_wf_per_row_multipass_2_3_kernelILj256ELj2ELj32E21rocsparse_complex_numIdEEEv20rocsparse_direction_iiiNS_24const_host_device_scalarIT2_EEPKiS8_PKS5_S6_S8_S8_SA_S8_PiPS5_21rocsparse_index_base_SD_SD_b.has_indirect_call, 0
	.section	.AMDGPU.csdata,"",@progbits
; Kernel info:
; codeLenInByte = 2692
; TotalNumSgprs: 29
; NumVgprs: 68
; ScratchSize: 16
; MemoryBound: 0
; FloatMode: 240
; IeeeMode: 1
; LDSByteSize: 16640 bytes/workgroup (compile time only)
; SGPRBlocks: 0
; VGPRBlocks: 8
; NumSGPRsForWavesPerEU: 29
; NumVGPRsForWavesPerEU: 68
; Occupancy: 14
; WaveLimiterHint : 1
; COMPUTE_PGM_RSRC2:SCRATCH_EN: 1
; COMPUTE_PGM_RSRC2:USER_SGPR: 2
; COMPUTE_PGM_RSRC2:TRAP_HANDLER: 0
; COMPUTE_PGM_RSRC2:TGID_X_EN: 1
; COMPUTE_PGM_RSRC2:TGID_Y_EN: 0
; COMPUTE_PGM_RSRC2:TGID_Z_EN: 0
; COMPUTE_PGM_RSRC2:TIDIG_COMP_CNT: 0
	.section	.text._ZN9rocsparseL39bsrgeam_wf_per_row_multipass_2_3_kernelILj256ELj2ELj64E21rocsparse_complex_numIdEEEv20rocsparse_direction_iiiNS_24const_host_device_scalarIT2_EEPKiS8_PKS5_S6_S8_S8_SA_S8_PiPS5_21rocsparse_index_base_SD_SD_b,"axG",@progbits,_ZN9rocsparseL39bsrgeam_wf_per_row_multipass_2_3_kernelILj256ELj2ELj64E21rocsparse_complex_numIdEEEv20rocsparse_direction_iiiNS_24const_host_device_scalarIT2_EEPKiS8_PKS5_S6_S8_S8_SA_S8_PiPS5_21rocsparse_index_base_SD_SD_b,comdat
	.globl	_ZN9rocsparseL39bsrgeam_wf_per_row_multipass_2_3_kernelILj256ELj2ELj64E21rocsparse_complex_numIdEEEv20rocsparse_direction_iiiNS_24const_host_device_scalarIT2_EEPKiS8_PKS5_S6_S8_S8_SA_S8_PiPS5_21rocsparse_index_base_SD_SD_b ; -- Begin function _ZN9rocsparseL39bsrgeam_wf_per_row_multipass_2_3_kernelILj256ELj2ELj64E21rocsparse_complex_numIdEEEv20rocsparse_direction_iiiNS_24const_host_device_scalarIT2_EEPKiS8_PKS5_S6_S8_S8_SA_S8_PiPS5_21rocsparse_index_base_SD_SD_b
	.p2align	8
	.type	_ZN9rocsparseL39bsrgeam_wf_per_row_multipass_2_3_kernelILj256ELj2ELj64E21rocsparse_complex_numIdEEEv20rocsparse_direction_iiiNS_24const_host_device_scalarIT2_EEPKiS8_PKS5_S6_S8_S8_SA_S8_PiPS5_21rocsparse_index_base_SD_SD_b,@function
_ZN9rocsparseL39bsrgeam_wf_per_row_multipass_2_3_kernelILj256ELj2ELj64E21rocsparse_complex_numIdEEEv20rocsparse_direction_iiiNS_24const_host_device_scalarIT2_EEPKiS8_PKS5_S6_S8_S8_SA_S8_PiPS5_21rocsparse_index_base_SD_SD_b: ; @_ZN9rocsparseL39bsrgeam_wf_per_row_multipass_2_3_kernelILj256ELj2ELj64E21rocsparse_complex_numIdEEEv20rocsparse_direction_iiiNS_24const_host_device_scalarIT2_EEPKiS8_PKS5_S6_S8_S8_SA_S8_PiPS5_21rocsparse_index_base_SD_SD_b
; %bb.0:
	s_clause 0x1
	s_load_b128 s[4:7], s[0:1], 0x78
	s_load_b128 s[8:11], s[0:1], 0x10
	s_mov_b64 s[2:3], src_private_base
	s_wait_kmcnt 0x0
	s_bitcmp1_b32 s7, 0
	v_dual_mov_b32 v1, s8 :: v_dual_mov_b32 v2, s9
	s_cselect_b32 s2, -1, 0
	v_dual_mov_b32 v16, s11 :: v_dual_mov_b32 v15, s10
	s_and_b32 vcc_lo, s2, exec_lo
	s_cselect_b32 s7, 0, s8
	s_cselect_b32 s3, s3, s9
	s_delay_alu instid0(SALU_CYCLE_1)
	v_dual_mov_b32 v3, s7 :: v_dual_mov_b32 v4, s3
	scratch_store_b64 off, v[1:2], off
	flat_load_b64 v[13:14], v[3:4]
	s_cbranch_vccnz .LBB25_2
; %bb.1:
	v_dual_mov_b32 v1, s8 :: v_dual_mov_b32 v2, s9
	flat_load_b64 v[15:16], v[1:2] offset:8
.LBB25_2:
	s_load_b96 s[24:26], s[0:1], 0x0
	v_lshrrev_b32_e32 v11, 6, v0
	s_lshl_b32 s3, ttmp9, 2
	s_wait_alu 0xfffe
	s_delay_alu instid0(VALU_DEP_1) | instskip(SKIP_2) | instid1(VALU_DEP_1)
	v_and_or_b32 v1, 0x3fffffc, s3, v11
	s_mov_b32 s3, exec_lo
	s_wait_kmcnt 0x0
	v_cmpx_gt_i32_e64 s25, v1
	s_cbranch_execz .LBB25_37
; %bb.3:
	s_clause 0x3
	s_load_b64 s[16:17], s[0:1], 0x38
	s_load_b128 s[8:11], s[0:1], 0x20
	s_load_b128 s[12:15], s[0:1], 0x48
	s_load_b64 s[18:19], s[0:1], 0x60
	s_add_nc_u64 s[20:21], s[0:1], 56
	s_and_b32 s2, s2, exec_lo
	s_wait_kmcnt 0x0
	s_cselect_b32 s2, s21, s17
	s_wait_alu 0xfffe
	v_dual_mov_b32 v2, s2 :: v_dual_lshlrev_b32 v5, 2, v1
	s_cselect_b32 s3, s20, s16
	s_wait_alu 0xfffe
	v_mov_b32_e32 v1, s3
	global_load_b64 v[9:10], v5, s[8:9]
	flat_load_b128 v[1:4], v[1:2]
	s_clause 0x1
	global_load_b64 v[7:8], v5, s[12:13]
	global_load_b32 v12, v5, s[18:19]
	s_wait_loadcnt 0x3
	v_subrev_nc_u32_e32 v5, s4, v9
	v_cmp_lt_i32_e32 vcc_lo, v9, v10
	v_mov_b32_e32 v9, s26
	s_and_saveexec_b32 s2, vcc_lo
	s_cbranch_execz .LBB25_5
; %bb.4:
	v_ashrrev_i32_e32 v6, 31, v5
	s_delay_alu instid0(VALU_DEP_1) | instskip(NEXT) | instid1(VALU_DEP_1)
	v_lshlrev_b64_e32 v[17:18], 2, v[5:6]
	v_add_co_u32 v17, vcc_lo, s10, v17
	s_delay_alu instid0(VALU_DEP_1)
	v_add_co_ci_u32_e64 v18, null, s11, v18, vcc_lo
	global_load_b32 v6, v[17:18], off
	s_wait_loadcnt 0x0
	v_subrev_nc_u32_e32 v9, s4, v6
.LBB25_5:
	s_wait_alu 0xfffe
	s_or_b32 exec_lo, exec_lo, s2
	s_clause 0x2
	s_load_b128 s[16:19], s[0:1], 0x68
	s_load_b64 s[2:3], s[0:1], 0x58
	s_load_b64 s[8:9], s[0:1], 0x30
	s_wait_loadcnt 0x1
	v_subrev_nc_u32_e32 v6, s5, v7
	v_cmp_lt_i32_e32 vcc_lo, v7, v8
	v_mov_b32_e32 v7, s26
	s_and_saveexec_b32 s0, vcc_lo
	s_cbranch_execz .LBB25_7
; %bb.6:
	v_ashrrev_i32_e32 v7, 31, v6
	s_delay_alu instid0(VALU_DEP_1) | instskip(NEXT) | instid1(VALU_DEP_1)
	v_lshlrev_b64_e32 v[17:18], 2, v[6:7]
	v_add_co_u32 v17, vcc_lo, s14, v17
	s_wait_alu 0xfffd
	s_delay_alu instid0(VALU_DEP_2)
	v_add_co_ci_u32_e64 v18, null, s15, v18, vcc_lo
	global_load_b32 v7, v[17:18], off
	s_wait_loadcnt 0x0
	v_subrev_nc_u32_e32 v7, s5, v7
.LBB25_7:
	s_or_b32 exec_lo, exec_lo, s0
	s_movk_i32 s0, 0xc0
	v_subrev_nc_u32_e32 v28, s4, v10
	v_and_or_b32 v27, v0, s0, 0x4000
	v_and_b32_e32 v10, 63, v0
	v_subrev_nc_u32_e32 v0, s5, v8
	v_mbcnt_lo_u32_b32 v8, -1, 0
	s_wait_loadcnt 0x0
	v_subrev_nc_u32_e32 v29, s6, v12
	v_min_i32_e32 v33, v7, v9
	s_mov_b32 s20, 0
	s_cmp_lg_u32 s24, 0
	v_xor_b32_e32 v12, 2, v8
	v_add_nc_u32_e32 v17, v5, v10
	v_or_b32_e32 v5, 32, v8
	v_xor_b32_e32 v9, 8, v8
	v_xor_b32_e32 v18, 1, v8
	s_mov_b32 s21, s20
	s_mov_b32 s22, s20
	v_cmp_gt_i32_e32 vcc_lo, 32, v5
	v_lshlrev_b32_e32 v26, 12, v11
	v_xor_b32_e32 v11, 4, v8
	s_mov_b32 s23, s20
	s_cselect_b32 s1, -1, 0
	s_wait_alu 0xfffd
	v_cndmask_b32_e32 v5, v8, v5, vcc_lo
	s_cmp_eq_u32 s24, 0
	v_mov_b32_e32 v43, 1
	s_delay_alu instid0(VALU_DEP_2) | instskip(SKIP_1) | instid1(VALU_DEP_1)
	v_dual_mov_b32 v23, 0 :: v_dual_lshlrev_b32 v32, 2, v5
	v_xor_b32_e32 v5, 16, v8
	v_cmp_gt_i32_e32 vcc_lo, 32, v5
	s_wait_alu 0xfffd
	v_cndmask_b32_e32 v5, v8, v5, vcc_lo
	v_cmp_gt_i32_e32 vcc_lo, 32, v9
	v_add_nc_u32_e32 v19, v6, v10
	v_lshl_or_b32 v30, v10, 6, v26
	v_xor_b32_e32 v6, 63, v10
	v_add_nc_u32_e32 v31, s6, v10
	s_wait_alu 0xfffd
	v_cndmask_b32_e32 v9, v8, v9, vcc_lo
	v_cmp_gt_i32_e32 vcc_lo, 32, v11
	v_or_b32_e32 v7, 32, v30
	v_lshrrev_b64 v[21:22], v6, -1
	v_or_b32_e32 v6, 16, v30
	v_or_b32_e32 v34, 48, v30
	s_wait_alu 0xfffd
	v_cndmask_b32_e32 v11, v8, v11, vcc_lo
	v_cmp_gt_i32_e32 vcc_lo, 32, v12
	v_lshlrev_b32_e32 v35, 2, v5
	v_add_nc_u32_e32 v42, v27, v10
	s_wait_alu 0xfffd
	v_cndmask_b32_e32 v12, v8, v12, vcc_lo
	v_cmp_gt_i32_e32 vcc_lo, 32, v18
	s_delay_alu instid0(VALU_DEP_2)
	v_lshlrev_b32_e32 v38, 2, v12
	s_wait_alu 0xfffd
	v_cndmask_b32_e32 v8, v8, v18, vcc_lo
	s_cselect_b32 vcc_lo, -1, 0
	s_wait_alu 0xfffe
	v_dual_cndmask_b32 v41, v6, v7 :: v_dual_lshlrev_b32 v36, 2, v9
	v_dual_cndmask_b32 v40, v7, v6 :: v_dual_lshlrev_b32 v37, 2, v11
	v_lshlrev_b32_e32 v39, 2, v8
	v_dual_mov_b32 v5, s20 :: v_dual_mov_b32 v6, s21
	v_dual_mov_b32 v7, s22 :: v_dual_mov_b32 v8, s23
	s_branch .LBB25_9
.LBB25_8:                               ;   in Loop: Header=BB25_9 Depth=1
	s_wait_alu 0xfffe
	s_or_b32 exec_lo, exec_lo, s6
	ds_bpermute_b32 v9, v32, v44
	s_bcnt1_i32_b32 s6, vcc_lo
	s_wait_alu 0xfffe
	v_add_nc_u32_e32 v29, s6, v29
	s_wait_dscnt 0x0
	v_min_i32_e32 v9, v9, v44
	ds_bpermute_b32 v10, v35, v9
	s_wait_dscnt 0x0
	v_min_i32_e32 v9, v10, v9
	ds_bpermute_b32 v10, v36, v9
	;; [unrolled: 3-line block ×5, first 2 shown]
	s_wait_dscnt 0x0
	v_min_i32_e32 v33, v10, v9
	s_delay_alu instid0(VALU_DEP_1)
	v_cmp_le_i32_e64 s0, s26, v33
	s_or_b32 s20, s0, s20
	s_wait_alu 0xfffe
	s_and_not1_b32 exec_lo, exec_lo, s20
	s_cbranch_execz .LBB25_37
.LBB25_9:                               ; =>This Loop Header: Depth=1
                                        ;     Child Loop BB25_12 Depth 2
                                        ;     Child Loop BB25_25 Depth 2
	v_mov_b32_e32 v44, s26
	s_mov_b32 s6, exec_lo
	ds_store_b8 v42, v23
	ds_store_b128 v30, v[5:8]
	ds_store_b128 v30, v[5:8] offset:16
	ds_store_b128 v30, v[5:8] offset:32
	;; [unrolled: 1-line block ×3, first 2 shown]
	s_wait_storecnt_dscnt 0x0
	global_inv scope:SCOPE_SE
	v_cmpx_lt_i32_e64 v17, v28
	s_cbranch_execz .LBB25_22
; %bb.10:                               ;   in Loop: Header=BB25_9 Depth=1
	v_lshlrev_b32_e32 v22, 2, v17
	v_mov_b32_e32 v44, s26
	s_mov_b32 s7, 0
	s_branch .LBB25_12
.LBB25_11:                              ;   in Loop: Header=BB25_12 Depth=2
	s_or_b32 exec_lo, exec_lo, s13
	s_delay_alu instid0(SALU_CYCLE_1)
	s_and_b32 s0, exec_lo, s12
	s_wait_alu 0xfffe
	s_or_b32 s7, s0, s7
	s_wait_alu 0xfffe
	s_and_not1_b32 exec_lo, exec_lo, s7
	s_cbranch_execz .LBB25_21
.LBB25_12:                              ;   Parent Loop BB25_9 Depth=1
                                        ; =>  This Inner Loop Header: Depth=2
	v_ashrrev_i32_e32 v18, 31, v17
	s_mov_b32 s12, exec_lo
	s_delay_alu instid0(VALU_DEP_1) | instskip(NEXT) | instid1(VALU_DEP_1)
	v_lshlrev_b64_e32 v[9:10], 2, v[17:18]
	v_add_co_u32 v9, vcc_lo, s10, v9
	s_wait_alu 0xfffd
	s_delay_alu instid0(VALU_DEP_2) | instskip(SKIP_3) | instid1(VALU_DEP_1)
	v_add_co_ci_u32_e64 v10, null, s11, v10, vcc_lo
	global_load_b32 v9, v[9:10], off
	s_wait_loadcnt 0x0
	v_subrev_nc_u32_e32 v9, s4, v9
	v_sub_nc_u32_e32 v11, v9, v33
	s_delay_alu instid0(VALU_DEP_1)
	v_cmp_gt_u32_e64 s0, 64, v11
	v_cmpx_lt_u32_e32 63, v11
	s_xor_b32 s12, exec_lo, s12
; %bb.13:                               ;   in Loop: Header=BB25_12 Depth=2
	v_min_i32_e32 v44, v9, v44
                                        ; implicit-def: $vgpr11
; %bb.14:                               ;   in Loop: Header=BB25_12 Depth=2
	s_and_not1_saveexec_b32 s12, s12
	s_cbranch_execz .LBB25_19
; %bb.15:                               ;   in Loop: Header=BB25_12 Depth=2
	v_lshlrev_b64_e32 v[9:10], 4, v[22:23]
	v_lshlrev_b32_e32 v12, 6, v11
	v_add_nc_u32_e32 v18, v27, v11
	s_mov_b32 s13, -1
	s_delay_alu instid0(VALU_DEP_2)
	v_add_nc_u32_e32 v11, v26, v12
	s_wait_kmcnt 0x0
	v_add_co_u32 v9, vcc_lo, s8, v9
	s_wait_alu 0xfffd
	v_add_co_ci_u32_e64 v10, null, s9, v10, vcc_lo
	s_and_not1_b32 vcc_lo, exec_lo, s1
	global_load_b128 v[45:48], v[9:10], off
	s_wait_loadcnt 0x0
	v_mul_f64_e64 v[24:25], v[47:48], -v[15:16]
	v_mul_f64_e32 v[49:50], v[13:14], v[47:48]
	s_delay_alu instid0(VALU_DEP_2) | instskip(NEXT) | instid1(VALU_DEP_2)
	v_fma_f64 v[47:48], v[13:14], v[45:46], v[24:25]
	v_fma_f64 v[49:50], v[15:16], v[45:46], v[49:50]
	ds_store_b8 v18, v43
	ds_store_b128 v11, v[47:50]
	s_wait_alu 0xfffe
	s_cbranch_vccnz .LBB25_17
; %bb.16:                               ;   in Loop: Header=BB25_12 Depth=2
	s_clause 0x2
	global_load_b128 v[45:48], v[9:10], off offset:32
	global_load_b128 v[49:52], v[9:10], off offset:16
	;; [unrolled: 1-line block ×3, first 2 shown]
	s_mov_b32 s13, 0
	s_wait_loadcnt 0x2
	v_mul_f64_e64 v[24:25], v[47:48], -v[15:16]
	v_mul_f64_e32 v[47:48], v[13:14], v[47:48]
	s_wait_loadcnt 0x1
	v_mul_f64_e64 v[59:60], v[51:52], -v[15:16]
	v_mul_f64_e32 v[51:52], v[13:14], v[51:52]
	s_wait_loadcnt 0x0
	v_mul_f64_e64 v[61:62], v[55:56], -v[15:16]
	v_mul_f64_e32 v[63:64], v[13:14], v[55:56]
	v_fma_f64 v[55:56], v[13:14], v[45:46], v[24:25]
	v_fma_f64 v[57:58], v[15:16], v[45:46], v[47:48]
	;; [unrolled: 1-line block ×6, first 2 shown]
	ds_store_b128 v11, v[55:58] offset:16
	ds_store_b128 v11, v[45:48] offset:32
	;; [unrolled: 1-line block ×3, first 2 shown]
.LBB25_17:                              ;   in Loop: Header=BB25_12 Depth=2
	s_and_not1_b32 vcc_lo, exec_lo, s13
	s_wait_alu 0xfffe
	s_cbranch_vccnz .LBB25_19
; %bb.18:                               ;   in Loop: Header=BB25_12 Depth=2
	s_clause 0x2
	global_load_b128 v[45:48], v[9:10], off offset:16
	global_load_b128 v[49:52], v[9:10], off offset:32
	;; [unrolled: 1-line block ×3, first 2 shown]
	s_wait_loadcnt 0x2
	v_mul_f64_e64 v[9:10], v[47:48], -v[15:16]
	v_mul_f64_e32 v[24:25], v[13:14], v[47:48]
	s_wait_loadcnt 0x1
	v_mul_f64_e64 v[47:48], v[51:52], -v[15:16]
	v_mul_f64_e32 v[51:52], v[13:14], v[51:52]
	;; [unrolled: 3-line block ×3, first 2 shown]
	v_fma_f64 v[55:56], v[13:14], v[45:46], v[9:10]
	v_fma_f64 v[57:58], v[15:16], v[45:46], v[24:25]
	;; [unrolled: 1-line block ×6, first 2 shown]
	ds_store_b128 v11, v[55:58] offset:16
	ds_store_b128 v11, v[45:48] offset:32
	;; [unrolled: 1-line block ×3, first 2 shown]
.LBB25_19:                              ;   in Loop: Header=BB25_12 Depth=2
	s_or_b32 exec_lo, exec_lo, s12
	s_mov_b32 s12, -1
	s_and_saveexec_b32 s13, s0
	s_cbranch_execz .LBB25_11
; %bb.20:                               ;   in Loop: Header=BB25_12 Depth=2
	v_add_nc_u32_e32 v17, 64, v17
	v_add_nc_u32_e32 v22, 0x100, v22
	s_delay_alu instid0(VALU_DEP_2)
	v_cmp_ge_i32_e32 vcc_lo, v17, v28
	s_or_not1_b32 s12, vcc_lo, exec_lo
	s_branch .LBB25_11
.LBB25_21:                              ;   in Loop: Header=BB25_9 Depth=1
	s_or_b32 exec_lo, exec_lo, s7
.LBB25_22:                              ;   in Loop: Header=BB25_9 Depth=1
	s_wait_alu 0xfffe
	s_or_b32 exec_lo, exec_lo, s6
	s_delay_alu instid0(SALU_CYCLE_1)
	s_mov_b32 s6, exec_lo
	s_wait_loadcnt_dscnt 0x0
	global_inv scope:SCOPE_SE
	v_cmpx_lt_i32_e64 v19, v0
	s_cbranch_execz .LBB25_35
; %bb.23:                               ;   in Loop: Header=BB25_9 Depth=1
	v_lshlrev_b32_e32 v22, 2, v19
	s_mov_b32 s7, 0
	s_branch .LBB25_25
.LBB25_24:                              ;   in Loop: Header=BB25_25 Depth=2
	s_or_b32 exec_lo, exec_lo, s13
	s_delay_alu instid0(SALU_CYCLE_1)
	s_and_b32 s0, exec_lo, s12
	s_wait_alu 0xfffe
	s_or_b32 s7, s0, s7
	s_wait_alu 0xfffe
	s_and_not1_b32 exec_lo, exec_lo, s7
	s_cbranch_execz .LBB25_34
.LBB25_25:                              ;   Parent Loop BB25_9 Depth=1
                                        ; =>  This Inner Loop Header: Depth=2
	v_ashrrev_i32_e32 v20, 31, v19
	s_mov_b32 s12, exec_lo
	s_wait_dscnt 0x2
	s_delay_alu instid0(VALU_DEP_1) | instskip(NEXT) | instid1(VALU_DEP_1)
	v_lshlrev_b64_e32 v[9:10], 2, v[19:20]
	v_add_co_u32 v9, vcc_lo, s14, v9
	s_wait_alu 0xfffd
	s_delay_alu instid0(VALU_DEP_2) | instskip(SKIP_3) | instid1(VALU_DEP_1)
	v_add_co_ci_u32_e64 v10, null, s15, v10, vcc_lo
	global_load_b32 v9, v[9:10], off
	s_wait_loadcnt 0x0
	v_subrev_nc_u32_e32 v9, s5, v9
	v_sub_nc_u32_e32 v20, v9, v33
	s_delay_alu instid0(VALU_DEP_1)
	v_cmp_gt_u32_e64 s0, 64, v20
	v_cmpx_lt_u32_e32 63, v20
	s_xor_b32 s12, exec_lo, s12
; %bb.26:                               ;   in Loop: Header=BB25_25 Depth=2
	v_min_i32_e32 v44, v9, v44
                                        ; implicit-def: $vgpr20
; %bb.27:                               ;   in Loop: Header=BB25_25 Depth=2
	s_and_not1_saveexec_b32 s12, s12
	s_cbranch_execz .LBB25_32
; %bb.28:                               ;   in Loop: Header=BB25_25 Depth=2
	v_lshlrev_b64_e32 v[9:10], 4, v[22:23]
	s_mov_b32 s13, -1
	s_wait_kmcnt 0x0
	s_delay_alu instid0(VALU_DEP_1) | instskip(SKIP_1) | instid1(VALU_DEP_2)
	v_add_co_u32 v24, vcc_lo, s2, v9
	s_wait_alu 0xfffd
	v_add_co_ci_u32_e64 v25, null, s3, v10, vcc_lo
	v_lshlrev_b32_e32 v9, 6, v20
	v_add_nc_u32_e32 v20, v27, v20
	s_and_not1_b32 vcc_lo, exec_lo, s1
	global_load_b128 v[45:48], v[24:25], off
	v_add_nc_u32_e32 v18, v26, v9
	ds_load_b128 v[49:52], v18
	ds_load_b128 v[9:12], v18 offset:16
	s_wait_loadcnt_dscnt 0x1
	v_fma_f64 v[49:50], v[1:2], v[45:46], v[49:50]
	v_fma_f64 v[51:52], v[3:4], v[45:46], v[51:52]
	s_delay_alu instid0(VALU_DEP_2) | instskip(NEXT) | instid1(VALU_DEP_2)
	v_fma_f64 v[45:46], -v[3:4], v[47:48], v[49:50]
	v_fma_f64 v[47:48], v[1:2], v[47:48], v[51:52]
	ds_store_b8 v20, v43
	ds_store_b128 v18, v[45:48]
	s_wait_alu 0xfffe
	s_cbranch_vccnz .LBB25_30
; %bb.29:                               ;   in Loop: Header=BB25_25 Depth=2
	s_clause 0x2
	global_load_b128 v[45:48], v[24:25], off offset:32
	global_load_b128 v[49:52], v[24:25], off offset:16
	;; [unrolled: 1-line block ×3, first 2 shown]
	ds_load_b128 v[57:60], v18 offset:32
	ds_load_b128 v[61:64], v18 offset:48
	s_mov_b32 s13, 0
	s_wait_loadcnt_dscnt 0x204
	v_fma_f64 v[65:66], v[1:2], v[45:46], v[9:10]
	v_fma_f64 v[67:68], v[3:4], v[45:46], v[11:12]
	s_wait_loadcnt_dscnt 0x101
	v_fma_f64 v[57:58], v[1:2], v[49:50], v[57:58]
	v_fma_f64 v[59:60], v[3:4], v[49:50], v[59:60]
	;; [unrolled: 3-line block ×3, first 2 shown]
	v_fma_f64 v[45:46], -v[3:4], v[47:48], v[65:66]
	v_fma_f64 v[47:48], v[1:2], v[47:48], v[67:68]
	v_fma_f64 v[49:50], -v[3:4], v[51:52], v[57:58]
	v_fma_f64 v[51:52], v[1:2], v[51:52], v[59:60]
	;; [unrolled: 2-line block ×3, first 2 shown]
	ds_store_b128 v18, v[45:48] offset:16
	ds_store_b128 v18, v[49:52] offset:32
	;; [unrolled: 1-line block ×3, first 2 shown]
.LBB25_30:                              ;   in Loop: Header=BB25_25 Depth=2
	s_and_not1_b32 vcc_lo, exec_lo, s13
	s_wait_alu 0xfffe
	s_cbranch_vccnz .LBB25_32
; %bb.31:                               ;   in Loop: Header=BB25_25 Depth=2
	s_clause 0x2
	global_load_b128 v[45:48], v[24:25], off offset:16
	global_load_b128 v[49:52], v[24:25], off offset:32
	;; [unrolled: 1-line block ×3, first 2 shown]
	ds_load_b128 v[57:60], v18 offset:32
	ds_load_b128 v[61:64], v18 offset:48
	s_wait_loadcnt_dscnt 0x204
	v_fma_f64 v[9:10], v[1:2], v[45:46], v[9:10]
	v_fma_f64 v[11:12], v[3:4], v[45:46], v[11:12]
	s_wait_loadcnt_dscnt 0x101
	v_fma_f64 v[24:25], v[1:2], v[49:50], v[57:58]
	v_fma_f64 v[49:50], v[3:4], v[49:50], v[59:60]
	;; [unrolled: 3-line block ×3, first 2 shown]
	v_fma_f64 v[9:10], -v[3:4], v[47:48], v[9:10]
	v_fma_f64 v[11:12], v[1:2], v[47:48], v[11:12]
	v_fma_f64 v[45:46], -v[3:4], v[51:52], v[24:25]
	v_fma_f64 v[47:48], v[1:2], v[51:52], v[49:50]
	;; [unrolled: 2-line block ×3, first 2 shown]
	ds_store_b128 v18, v[9:12] offset:16
	ds_store_b128 v18, v[45:48] offset:32
	;; [unrolled: 1-line block ×3, first 2 shown]
.LBB25_32:                              ;   in Loop: Header=BB25_25 Depth=2
	s_or_b32 exec_lo, exec_lo, s12
	s_mov_b32 s12, -1
	s_and_saveexec_b32 s13, s0
	s_cbranch_execz .LBB25_24
; %bb.33:                               ;   in Loop: Header=BB25_25 Depth=2
	v_add_nc_u32_e32 v19, 64, v19
	v_add_nc_u32_e32 v22, 0x100, v22
	s_delay_alu instid0(VALU_DEP_2)
	v_cmp_ge_i32_e32 vcc_lo, v19, v0
	s_or_not1_b32 s12, vcc_lo, exec_lo
	s_branch .LBB25_24
.LBB25_34:                              ;   in Loop: Header=BB25_9 Depth=1
	s_or_b32 exec_lo, exec_lo, s7
.LBB25_35:                              ;   in Loop: Header=BB25_9 Depth=1
	s_wait_alu 0xfffe
	s_or_b32 exec_lo, exec_lo, s6
	s_wait_loadcnt_dscnt 0x0
	global_inv scope:SCOPE_SE
	ds_load_u8 v9, v42
	s_mov_b32 s6, exec_lo
	s_wait_dscnt 0x0
	v_and_b32_e32 v10, 1, v9
	v_cmp_ne_u16_e32 vcc_lo, 0, v9
	s_delay_alu instid0(VALU_DEP_2)
	v_cmpx_eq_u32_e32 1, v10
	s_cbranch_execz .LBB25_8
; %bb.36:                               ;   in Loop: Header=BB25_9 Depth=1
	s_wait_alu 0xfffd
	v_and_b32_e32 v9, vcc_lo, v21
	v_add_nc_u32_e32 v18, v31, v33
	s_delay_alu instid0(VALU_DEP_2) | instskip(NEXT) | instid1(VALU_DEP_1)
	v_bcnt_u32_b32 v9, v9, 0
	v_add3_u32 v24, v29, v9, -1
	ds_load_2addr_b64 v[9:12], v40 offset1:1
	ds_load_2addr_b64 v[45:48], v41 offset1:1
	;; [unrolled: 1-line block ×4, first 2 shown]
	v_ashrrev_i32_e32 v25, 31, v24
	v_lshlrev_b32_e32 v22, 2, v24
	s_delay_alu instid0(VALU_DEP_2) | instskip(NEXT) | instid1(VALU_DEP_2)
	v_lshlrev_b64_e32 v[24:25], 2, v[24:25]
	v_lshlrev_b64_e32 v[57:58], 4, v[22:23]
	s_wait_kmcnt 0x0
	s_delay_alu instid0(VALU_DEP_2) | instskip(SKIP_1) | instid1(VALU_DEP_3)
	v_add_co_u32 v24, s0, s16, v24
	s_wait_alu 0xf1ff
	v_add_co_ci_u32_e64 v25, null, s17, v25, s0
	s_delay_alu instid0(VALU_DEP_3)
	v_add_co_u32 v57, s0, s18, v57
	s_wait_alu 0xf1ff
	v_add_co_ci_u32_e64 v58, null, s19, v58, s0
	global_store_b32 v[24:25], v18, off
	s_wait_dscnt 0x1
	s_clause 0x2
	global_store_b128 v[57:58], v[49:52], off
	global_store_b128 v[57:58], v[9:12], off offset:16
	global_store_b128 v[57:58], v[45:48], off offset:32
	s_wait_dscnt 0x0
	global_store_b128 v[57:58], v[53:56], off offset:48
	s_branch .LBB25_8
.LBB25_37:
	s_endpgm
	.section	.rodata,"a",@progbits
	.p2align	6, 0x0
	.amdhsa_kernel _ZN9rocsparseL39bsrgeam_wf_per_row_multipass_2_3_kernelILj256ELj2ELj64E21rocsparse_complex_numIdEEEv20rocsparse_direction_iiiNS_24const_host_device_scalarIT2_EEPKiS8_PKS5_S6_S8_S8_SA_S8_PiPS5_21rocsparse_index_base_SD_SD_b
		.amdhsa_group_segment_fixed_size 16640
		.amdhsa_private_segment_fixed_size 16
		.amdhsa_kernarg_size 136
		.amdhsa_user_sgpr_count 2
		.amdhsa_user_sgpr_dispatch_ptr 0
		.amdhsa_user_sgpr_queue_ptr 0
		.amdhsa_user_sgpr_kernarg_segment_ptr 1
		.amdhsa_user_sgpr_dispatch_id 0
		.amdhsa_user_sgpr_private_segment_size 0
		.amdhsa_wavefront_size32 1
		.amdhsa_uses_dynamic_stack 0
		.amdhsa_enable_private_segment 1
		.amdhsa_system_sgpr_workgroup_id_x 1
		.amdhsa_system_sgpr_workgroup_id_y 0
		.amdhsa_system_sgpr_workgroup_id_z 0
		.amdhsa_system_sgpr_workgroup_info 0
		.amdhsa_system_vgpr_workitem_id 0
		.amdhsa_next_free_vgpr 69
		.amdhsa_next_free_sgpr 27
		.amdhsa_reserve_vcc 1
		.amdhsa_float_round_mode_32 0
		.amdhsa_float_round_mode_16_64 0
		.amdhsa_float_denorm_mode_32 3
		.amdhsa_float_denorm_mode_16_64 3
		.amdhsa_fp16_overflow 0
		.amdhsa_workgroup_processor_mode 1
		.amdhsa_memory_ordered 1
		.amdhsa_forward_progress 1
		.amdhsa_inst_pref_size 22
		.amdhsa_round_robin_scheduling 0
		.amdhsa_exception_fp_ieee_invalid_op 0
		.amdhsa_exception_fp_denorm_src 0
		.amdhsa_exception_fp_ieee_div_zero 0
		.amdhsa_exception_fp_ieee_overflow 0
		.amdhsa_exception_fp_ieee_underflow 0
		.amdhsa_exception_fp_ieee_inexact 0
		.amdhsa_exception_int_div_zero 0
	.end_amdhsa_kernel
	.section	.text._ZN9rocsparseL39bsrgeam_wf_per_row_multipass_2_3_kernelILj256ELj2ELj64E21rocsparse_complex_numIdEEEv20rocsparse_direction_iiiNS_24const_host_device_scalarIT2_EEPKiS8_PKS5_S6_S8_S8_SA_S8_PiPS5_21rocsparse_index_base_SD_SD_b,"axG",@progbits,_ZN9rocsparseL39bsrgeam_wf_per_row_multipass_2_3_kernelILj256ELj2ELj64E21rocsparse_complex_numIdEEEv20rocsparse_direction_iiiNS_24const_host_device_scalarIT2_EEPKiS8_PKS5_S6_S8_S8_SA_S8_PiPS5_21rocsparse_index_base_SD_SD_b,comdat
.Lfunc_end25:
	.size	_ZN9rocsparseL39bsrgeam_wf_per_row_multipass_2_3_kernelILj256ELj2ELj64E21rocsparse_complex_numIdEEEv20rocsparse_direction_iiiNS_24const_host_device_scalarIT2_EEPKiS8_PKS5_S6_S8_S8_SA_S8_PiPS5_21rocsparse_index_base_SD_SD_b, .Lfunc_end25-_ZN9rocsparseL39bsrgeam_wf_per_row_multipass_2_3_kernelILj256ELj2ELj64E21rocsparse_complex_numIdEEEv20rocsparse_direction_iiiNS_24const_host_device_scalarIT2_EEPKiS8_PKS5_S6_S8_S8_SA_S8_PiPS5_21rocsparse_index_base_SD_SD_b
                                        ; -- End function
	.set _ZN9rocsparseL39bsrgeam_wf_per_row_multipass_2_3_kernelILj256ELj2ELj64E21rocsparse_complex_numIdEEEv20rocsparse_direction_iiiNS_24const_host_device_scalarIT2_EEPKiS8_PKS5_S6_S8_S8_SA_S8_PiPS5_21rocsparse_index_base_SD_SD_b.num_vgpr, 69
	.set _ZN9rocsparseL39bsrgeam_wf_per_row_multipass_2_3_kernelILj256ELj2ELj64E21rocsparse_complex_numIdEEEv20rocsparse_direction_iiiNS_24const_host_device_scalarIT2_EEPKiS8_PKS5_S6_S8_S8_SA_S8_PiPS5_21rocsparse_index_base_SD_SD_b.num_agpr, 0
	.set _ZN9rocsparseL39bsrgeam_wf_per_row_multipass_2_3_kernelILj256ELj2ELj64E21rocsparse_complex_numIdEEEv20rocsparse_direction_iiiNS_24const_host_device_scalarIT2_EEPKiS8_PKS5_S6_S8_S8_SA_S8_PiPS5_21rocsparse_index_base_SD_SD_b.numbered_sgpr, 27
	.set _ZN9rocsparseL39bsrgeam_wf_per_row_multipass_2_3_kernelILj256ELj2ELj64E21rocsparse_complex_numIdEEEv20rocsparse_direction_iiiNS_24const_host_device_scalarIT2_EEPKiS8_PKS5_S6_S8_S8_SA_S8_PiPS5_21rocsparse_index_base_SD_SD_b.num_named_barrier, 0
	.set _ZN9rocsparseL39bsrgeam_wf_per_row_multipass_2_3_kernelILj256ELj2ELj64E21rocsparse_complex_numIdEEEv20rocsparse_direction_iiiNS_24const_host_device_scalarIT2_EEPKiS8_PKS5_S6_S8_S8_SA_S8_PiPS5_21rocsparse_index_base_SD_SD_b.private_seg_size, 16
	.set _ZN9rocsparseL39bsrgeam_wf_per_row_multipass_2_3_kernelILj256ELj2ELj64E21rocsparse_complex_numIdEEEv20rocsparse_direction_iiiNS_24const_host_device_scalarIT2_EEPKiS8_PKS5_S6_S8_S8_SA_S8_PiPS5_21rocsparse_index_base_SD_SD_b.uses_vcc, 1
	.set _ZN9rocsparseL39bsrgeam_wf_per_row_multipass_2_3_kernelILj256ELj2ELj64E21rocsparse_complex_numIdEEEv20rocsparse_direction_iiiNS_24const_host_device_scalarIT2_EEPKiS8_PKS5_S6_S8_S8_SA_S8_PiPS5_21rocsparse_index_base_SD_SD_b.uses_flat_scratch, 0
	.set _ZN9rocsparseL39bsrgeam_wf_per_row_multipass_2_3_kernelILj256ELj2ELj64E21rocsparse_complex_numIdEEEv20rocsparse_direction_iiiNS_24const_host_device_scalarIT2_EEPKiS8_PKS5_S6_S8_S8_SA_S8_PiPS5_21rocsparse_index_base_SD_SD_b.has_dyn_sized_stack, 0
	.set _ZN9rocsparseL39bsrgeam_wf_per_row_multipass_2_3_kernelILj256ELj2ELj64E21rocsparse_complex_numIdEEEv20rocsparse_direction_iiiNS_24const_host_device_scalarIT2_EEPKiS8_PKS5_S6_S8_S8_SA_S8_PiPS5_21rocsparse_index_base_SD_SD_b.has_recursion, 0
	.set _ZN9rocsparseL39bsrgeam_wf_per_row_multipass_2_3_kernelILj256ELj2ELj64E21rocsparse_complex_numIdEEEv20rocsparse_direction_iiiNS_24const_host_device_scalarIT2_EEPKiS8_PKS5_S6_S8_S8_SA_S8_PiPS5_21rocsparse_index_base_SD_SD_b.has_indirect_call, 0
	.section	.AMDGPU.csdata,"",@progbits
; Kernel info:
; codeLenInByte = 2724
; TotalNumSgprs: 29
; NumVgprs: 69
; ScratchSize: 16
; MemoryBound: 0
; FloatMode: 240
; IeeeMode: 1
; LDSByteSize: 16640 bytes/workgroup (compile time only)
; SGPRBlocks: 0
; VGPRBlocks: 8
; NumSGPRsForWavesPerEU: 29
; NumVGPRsForWavesPerEU: 69
; Occupancy: 14
; WaveLimiterHint : 1
; COMPUTE_PGM_RSRC2:SCRATCH_EN: 1
; COMPUTE_PGM_RSRC2:USER_SGPR: 2
; COMPUTE_PGM_RSRC2:TRAP_HANDLER: 0
; COMPUTE_PGM_RSRC2:TGID_X_EN: 1
; COMPUTE_PGM_RSRC2:TGID_Y_EN: 0
; COMPUTE_PGM_RSRC2:TGID_Z_EN: 0
; COMPUTE_PGM_RSRC2:TIDIG_COMP_CNT: 0
	.section	.text._ZN9rocsparseL39bsrgeam_wf_per_row_multipass_2_3_kernelILj256ELj3ELj32E21rocsparse_complex_numIdEEEv20rocsparse_direction_iiiNS_24const_host_device_scalarIT2_EEPKiS8_PKS5_S6_S8_S8_SA_S8_PiPS5_21rocsparse_index_base_SD_SD_b,"axG",@progbits,_ZN9rocsparseL39bsrgeam_wf_per_row_multipass_2_3_kernelILj256ELj3ELj32E21rocsparse_complex_numIdEEEv20rocsparse_direction_iiiNS_24const_host_device_scalarIT2_EEPKiS8_PKS5_S6_S8_S8_SA_S8_PiPS5_21rocsparse_index_base_SD_SD_b,comdat
	.globl	_ZN9rocsparseL39bsrgeam_wf_per_row_multipass_2_3_kernelILj256ELj3ELj32E21rocsparse_complex_numIdEEEv20rocsparse_direction_iiiNS_24const_host_device_scalarIT2_EEPKiS8_PKS5_S6_S8_S8_SA_S8_PiPS5_21rocsparse_index_base_SD_SD_b ; -- Begin function _ZN9rocsparseL39bsrgeam_wf_per_row_multipass_2_3_kernelILj256ELj3ELj32E21rocsparse_complex_numIdEEEv20rocsparse_direction_iiiNS_24const_host_device_scalarIT2_EEPKiS8_PKS5_S6_S8_S8_SA_S8_PiPS5_21rocsparse_index_base_SD_SD_b
	.p2align	8
	.type	_ZN9rocsparseL39bsrgeam_wf_per_row_multipass_2_3_kernelILj256ELj3ELj32E21rocsparse_complex_numIdEEEv20rocsparse_direction_iiiNS_24const_host_device_scalarIT2_EEPKiS8_PKS5_S6_S8_S8_SA_S8_PiPS5_21rocsparse_index_base_SD_SD_b,@function
_ZN9rocsparseL39bsrgeam_wf_per_row_multipass_2_3_kernelILj256ELj3ELj32E21rocsparse_complex_numIdEEEv20rocsparse_direction_iiiNS_24const_host_device_scalarIT2_EEPKiS8_PKS5_S6_S8_S8_SA_S8_PiPS5_21rocsparse_index_base_SD_SD_b: ; @_ZN9rocsparseL39bsrgeam_wf_per_row_multipass_2_3_kernelILj256ELj3ELj32E21rocsparse_complex_numIdEEEv20rocsparse_direction_iiiNS_24const_host_device_scalarIT2_EEPKiS8_PKS5_S6_S8_S8_SA_S8_PiPS5_21rocsparse_index_base_SD_SD_b
; %bb.0:
	s_clause 0x1
	s_load_b128 s[4:7], s[0:1], 0x78
	s_load_b128 s[8:11], s[0:1], 0x10
	s_mov_b64 s[2:3], src_private_base
	s_wait_kmcnt 0x0
	s_bitcmp1_b32 s7, 0
	v_dual_mov_b32 v1, s8 :: v_dual_mov_b32 v2, s9
	s_cselect_b32 s2, -1, 0
	v_dual_mov_b32 v16, s11 :: v_dual_mov_b32 v15, s10
	s_and_b32 vcc_lo, s2, exec_lo
	s_cselect_b32 s7, 0, s8
	s_cselect_b32 s3, s3, s9
	s_delay_alu instid0(SALU_CYCLE_1)
	v_dual_mov_b32 v3, s7 :: v_dual_mov_b32 v4, s3
	scratch_store_b64 off, v[1:2], off
	flat_load_b64 v[13:14], v[3:4]
	s_cbranch_vccnz .LBB26_2
; %bb.1:
	v_dual_mov_b32 v1, s8 :: v_dual_mov_b32 v2, s9
	flat_load_b64 v[15:16], v[1:2] offset:8
.LBB26_2:
	s_load_b96 s[24:26], s[0:1], 0x0
	v_lshrrev_b32_e32 v12, 5, v0
	s_lshl_b32 s3, ttmp9, 3
	s_wait_alu 0xfffe
	s_delay_alu instid0(VALU_DEP_1) | instskip(SKIP_2) | instid1(VALU_DEP_1)
	v_and_or_b32 v1, 0x7fffff8, s3, v12
	s_mov_b32 s3, exec_lo
	s_wait_kmcnt 0x0
	v_cmpx_gt_i32_e64 s25, v1
	s_cbranch_execz .LBB26_37
; %bb.3:
	s_clause 0x3
	s_load_b64 s[16:17], s[0:1], 0x38
	s_load_b128 s[8:11], s[0:1], 0x20
	s_load_b128 s[12:15], s[0:1], 0x48
	s_load_b64 s[18:19], s[0:1], 0x60
	s_add_nc_u64 s[20:21], s[0:1], 56
	s_and_b32 s2, s2, exec_lo
	s_wait_kmcnt 0x0
	s_cselect_b32 s2, s21, s17
	s_wait_alu 0xfffe
	v_dual_mov_b32 v2, s2 :: v_dual_lshlrev_b32 v5, 2, v1
	s_cselect_b32 s3, s20, s16
	s_wait_alu 0xfffe
	v_mov_b32_e32 v1, s3
	global_load_b64 v[6:7], v5, s[8:9]
	flat_load_b128 v[1:4], v[1:2]
	s_clause 0x1
	global_load_b64 v[8:9], v5, s[12:13]
	global_load_b32 v17, v5, s[18:19]
	s_wait_loadcnt 0x3
	v_subrev_nc_u32_e32 v5, s4, v6
	v_cmp_lt_i32_e32 vcc_lo, v6, v7
	v_mov_b32_e32 v6, s26
	s_and_saveexec_b32 s2, vcc_lo
	s_cbranch_execz .LBB26_5
; %bb.4:
	v_ashrrev_i32_e32 v6, 31, v5
	s_delay_alu instid0(VALU_DEP_1) | instskip(NEXT) | instid1(VALU_DEP_1)
	v_lshlrev_b64_e32 v[10:11], 2, v[5:6]
	v_add_co_u32 v10, vcc_lo, s10, v10
	s_delay_alu instid0(VALU_DEP_1)
	v_add_co_ci_u32_e64 v11, null, s11, v11, vcc_lo
	global_load_b32 v6, v[10:11], off
	s_wait_loadcnt 0x0
	v_subrev_nc_u32_e32 v6, s4, v6
.LBB26_5:
	s_wait_alu 0xfffe
	s_or_b32 exec_lo, exec_lo, s2
	s_clause 0x2
	s_load_b128 s[16:19], s[0:1], 0x68
	s_load_b64 s[2:3], s[0:1], 0x58
	s_load_b64 s[8:9], s[0:1], 0x30
	s_wait_loadcnt 0x1
	v_subrev_nc_u32_e32 v10, s5, v8
	v_cmp_lt_i32_e32 vcc_lo, v8, v9
	v_mov_b32_e32 v8, s26
	s_and_saveexec_b32 s0, vcc_lo
	s_cbranch_execz .LBB26_7
; %bb.6:
	v_ashrrev_i32_e32 v11, 31, v10
	s_delay_alu instid0(VALU_DEP_1) | instskip(NEXT) | instid1(VALU_DEP_1)
	v_lshlrev_b64_e32 v[18:19], 2, v[10:11]
	v_add_co_u32 v18, vcc_lo, s14, v18
	s_wait_alu 0xfffd
	s_delay_alu instid0(VALU_DEP_2)
	v_add_co_ci_u32_e64 v19, null, s15, v19, vcc_lo
	global_load_b32 v8, v[18:19], off
	s_wait_loadcnt 0x0
	v_subrev_nc_u32_e32 v8, s5, v8
.LBB26_7:
	s_or_b32 exec_lo, exec_lo, s0
	s_movk_i32 s0, 0xe0
	v_and_b32_e32 v11, 31, v0
	v_and_or_b32 v37, v0, s0, 0x9000
	v_subrev_nc_u32_e32 v0, s4, v7
	v_mbcnt_lo_u32_b32 v7, -1, 0
	s_wait_loadcnt 0x0
	v_subrev_nc_u32_e32 v39, s6, v17
	v_add_nc_u32_e32 v19, v10, v11
	v_subrev_nc_u32_e32 v38, s5, v9
	v_min_i32_e32 v59, v8, v6
	v_xor_b32_e32 v20, 4, v7
	v_add_nc_u32_e32 v17, v5, v11
	v_xor_b32_e32 v5, 16, v7
	v_xor_b32_e32 v10, 8, v7
	;; [unrolled: 1-line block ×4, first 2 shown]
	s_cmp_lg_u32 s24, 0
	v_cmp_gt_i32_e32 vcc_lo, 32, v5
	s_mov_b32 s20, 0
	s_cselect_b32 s1, -1, 0
	s_cmp_eq_u32 s24, 0
	v_mul_u32_u24_e32 v36, 0x1200, v12
	s_wait_alu 0xfffd
	v_cndmask_b32_e32 v5, v7, v5, vcc_lo
	v_cmp_gt_i32_e32 vcc_lo, 32, v10
	s_mov_b32 s21, s20
	s_mov_b32 s22, s20
	;; [unrolled: 1-line block ×3, first 2 shown]
	s_wait_alu 0xfffd
	v_dual_mov_b32 v57, 1 :: v_dual_cndmask_b32 v10, v7, v10
	v_mul_u32_u24_e32 v9, 0x90, v11
	v_cmp_gt_i32_e32 vcc_lo, 32, v20
	v_xor_b32_e32 v6, 31, v11
	v_add_nc_u32_e32 v42, s6, v11
	v_lshlrev_b32_e32 v46, 2, v10
	v_mad_u32_u24 v40, 0x1200, v12, v9
	s_wait_alu 0xfffd
	v_cndmask_b32_e32 v20, v7, v20, vcc_lo
	v_cmp_gt_i32_e32 vcc_lo, 32, v21
	v_lshrrev_b32_e64 v41, v6, -1
	v_add_nc_u32_e32 v56, v37, v11
	v_add_nc_u32_e32 v6, 32, v40
	;; [unrolled: 1-line block ×3, first 2 shown]
	s_wait_alu 0xfffd
	v_cndmask_b32_e32 v21, v7, v21, vcc_lo
	v_cmp_gt_i32_e32 vcc_lo, 32, v22
	v_add_nc_u32_e32 v8, 48, v40
	v_add_nc_u32_e32 v18, 0x70, v40
	;; [unrolled: 1-line block ×3, first 2 shown]
	v_lshlrev_b32_e32 v47, 2, v20
	s_wait_alu 0xfffd
	v_cndmask_b32_e32 v7, v7, v22, vcc_lo
	s_cselect_b32 vcc_lo, -1, 0
	v_lshlrev_b32_e32 v43, 2, v5
	v_add_nc_u32_e32 v5, 16, v40
	v_dual_mov_b32 v21, 0 :: v_dual_lshlrev_b32 v48, 2, v21
	v_add_nc_u32_e32 v12, 0x60, v40
	v_add_nc_u32_e32 v44, 64, v40
	s_wait_alu 0xfffe
	v_dual_cndmask_b32 v50, v8, v5 :: v_dual_lshlrev_b32 v49, 2, v7
	s_delay_alu instid0(VALU_DEP_3)
	v_dual_cndmask_b32 v52, v5, v8 :: v_dual_cndmask_b32 v51, v12, v6
	v_dual_cndmask_b32 v54, v6, v12 :: v_dual_mov_b32 v5, s20
	v_dual_mov_b32 v6, s21 :: v_dual_mov_b32 v7, s22
	v_dual_mov_b32 v8, s23 :: v_dual_cndmask_b32 v53, v18, v9
	v_cndmask_b32_e32 v55, v9, v18, vcc_lo
	s_branch .LBB26_9
.LBB26_8:                               ;   in Loop: Header=BB26_9 Depth=1
	s_wait_alu 0xfffe
	s_or_b32 exec_lo, exec_lo, s6
	ds_bpermute_b32 v9, v43, v58
	s_bcnt1_i32_b32 s6, vcc_lo
	s_wait_alu 0xfffe
	v_add_nc_u32_e32 v39, s6, v39
	s_wait_dscnt 0x0
	v_min_i32_e32 v9, v9, v58
	ds_bpermute_b32 v10, v46, v9
	s_wait_dscnt 0x0
	v_min_i32_e32 v9, v10, v9
	ds_bpermute_b32 v10, v47, v9
	;; [unrolled: 3-line block ×4, first 2 shown]
	s_wait_dscnt 0x0
	v_min_i32_e32 v59, v10, v9
	s_delay_alu instid0(VALU_DEP_1)
	v_cmp_le_i32_e64 s0, s26, v59
	s_or_b32 s20, s0, s20
	s_wait_alu 0xfffe
	s_and_not1_b32 exec_lo, exec_lo, s20
	s_cbranch_execz .LBB26_37
.LBB26_9:                               ; =>This Loop Header: Depth=1
                                        ;     Child Loop BB26_12 Depth 2
                                        ;     Child Loop BB26_25 Depth 2
	v_mov_b32_e32 v58, s26
	s_mov_b32 s6, exec_lo
	ds_store_b128 v40, v[5:8]
	ds_store_b128 v40, v[5:8] offset:16
	ds_store_b128 v40, v[5:8] offset:32
	;; [unrolled: 1-line block ×7, first 2 shown]
	ds_store_b8 v56, v21
	ds_store_b128 v40, v[5:8] offset:128
	s_wait_storecnt_dscnt 0x0
	global_inv scope:SCOPE_SE
	v_cmpx_lt_i32_e64 v17, v0
	s_cbranch_execz .LBB26_22
; %bb.10:                               ;   in Loop: Header=BB26_9 Depth=1
	v_mad_co_u64_u32 v[9:10], null, v17, 9, 8
	v_mov_b32_e32 v58, s26
	s_mov_b32 s7, 0
	s_branch .LBB26_12
.LBB26_11:                              ;   in Loop: Header=BB26_12 Depth=2
	s_or_b32 exec_lo, exec_lo, s13
	s_delay_alu instid0(SALU_CYCLE_1)
	s_and_b32 s0, exec_lo, s12
	s_wait_alu 0xfffe
	s_or_b32 s7, s0, s7
	s_wait_alu 0xfffe
	s_and_not1_b32 exec_lo, exec_lo, s7
	s_cbranch_execz .LBB26_21
.LBB26_12:                              ;   Parent Loop BB26_9 Depth=1
                                        ; =>  This Inner Loop Header: Depth=2
	v_ashrrev_i32_e32 v18, 31, v17
	s_mov_b32 s12, exec_lo
	s_delay_alu instid0(VALU_DEP_1) | instskip(NEXT) | instid1(VALU_DEP_1)
	v_lshlrev_b64_e32 v[10:11], 2, v[17:18]
	v_add_co_u32 v10, vcc_lo, s10, v10
	s_wait_alu 0xfffd
	s_delay_alu instid0(VALU_DEP_2) | instskip(SKIP_3) | instid1(VALU_DEP_1)
	v_add_co_ci_u32_e64 v11, null, s11, v11, vcc_lo
	global_load_b32 v10, v[10:11], off
	s_wait_loadcnt 0x0
	v_subrev_nc_u32_e32 v11, s4, v10
	v_sub_nc_u32_e32 v10, v11, v59
	s_delay_alu instid0(VALU_DEP_1)
	v_cmp_gt_u32_e64 s0, 32, v10
	v_cmpx_lt_u32_e32 31, v10
	s_xor_b32 s12, exec_lo, s12
; %bb.13:                               ;   in Loop: Header=BB26_12 Depth=2
	v_min_i32_e32 v58, v11, v58
                                        ; implicit-def: $vgpr10
; %bb.14:                               ;   in Loop: Header=BB26_12 Depth=2
	s_and_not1_saveexec_b32 s12, s12
	s_cbranch_execz .LBB26_19
; %bb.15:                               ;   in Loop: Header=BB26_12 Depth=2
	v_add_nc_u32_e32 v20, -8, v9
	v_add_nc_u32_e32 v30, -7, v9
	;; [unrolled: 1-line block ×4, first 2 shown]
	s_mov_b32 s13, -1
	v_lshlrev_b64_e32 v[11:12], 4, v[20:21]
	v_add_nc_u32_e32 v20, -5, v9
	s_wait_kmcnt 0x0
	s_delay_alu instid0(VALU_DEP_2) | instskip(SKIP_1) | instid1(VALU_DEP_3)
	v_add_co_u32 v11, vcc_lo, s8, v11
	s_wait_alu 0xfffd
	v_add_co_ci_u32_e64 v12, null, s9, v12, vcc_lo
	s_and_not1_b32 vcc_lo, exec_lo, s1
	global_load_b128 v[22:25], v[11:12], off
	s_wait_loadcnt 0x0
	v_mul_f64_e64 v[11:12], v[24:25], -v[15:16]
	v_mul_f64_e32 v[24:25], v[13:14], v[24:25]
	s_delay_alu instid0(VALU_DEP_2) | instskip(NEXT) | instid1(VALU_DEP_2)
	v_fma_f64 v[31:32], v[13:14], v[22:23], v[11:12]
	v_fma_f64 v[33:34], v[15:16], v[22:23], v[24:25]
	v_mul_lo_u32 v11, 0x90, v10
	v_add_nc_u32_e32 v10, v37, v10
	v_add_nc_u32_e32 v22, -2, v9
	v_add_nc_u32_e32 v24, -3, v9
	s_delay_alu instid0(VALU_DEP_4)
	v_add_nc_u32_e32 v18, v36, v11
	v_add_nc_u32_e32 v11, -1, v9
	ds_store_b8 v10, v57
	ds_store_b128 v18, v[31:34]
	s_wait_alu 0xfffe
	s_cbranch_vccnz .LBB26_17
; %bb.16:                               ;   in Loop: Header=BB26_12 Depth=2
	v_dual_mov_b32 v23, v21 :: v_dual_mov_b32 v12, v21
	v_dual_mov_b32 v31, v21 :: v_dual_mov_b32 v10, v21
	v_lshlrev_b64_e32 v[32:33], 4, v[20:21]
	v_mov_b32_e32 v27, v21
	s_delay_alu instid0(VALU_DEP_4) | instskip(NEXT) | instid1(VALU_DEP_4)
	v_lshlrev_b64_e32 v[34:35], 4, v[22:23]
	v_lshlrev_b64_e32 v[64:65], 4, v[30:31]
	v_mov_b32_e32 v29, v21
	v_mov_b32_e32 v25, v21
	v_add_co_u32 v32, vcc_lo, s8, v32
	v_lshlrev_b64_e32 v[66:67], 4, v[26:27]
	s_wait_alu 0xfffd
	v_add_co_ci_u32_e64 v33, null, s9, v33, vcc_lo
	v_add_co_u32 v60, vcc_lo, s8, v34
	v_lshlrev_b64_e32 v[68:69], 4, v[11:12]
	s_wait_alu 0xfffd
	v_add_co_ci_u32_e64 v61, null, s9, v35, vcc_lo
	;; [unrolled: 4-line block ×5, first 2 shown]
	v_add_co_u32 v76, vcc_lo, s8, v76
	s_wait_alu 0xfffd
	v_add_co_ci_u32_e64 v77, null, s9, v77, vcc_lo
	v_add_co_u32 v82, vcc_lo, s8, v78
	s_clause 0x1
	global_load_b128 v[31:34], v[32:33], off
	global_load_b128 v[60:63], v[60:61], off
	s_wait_alu 0xfffd
	v_add_co_ci_u32_e64 v83, null, s9, v79, vcc_lo
	v_add_co_u32 v84, vcc_lo, s8, v80
	s_clause 0x2
	global_load_b128 v[64:67], v[64:65], off
	global_load_b128 v[68:71], v[70:71], off
	;; [unrolled: 1-line block ×3, first 2 shown]
	s_wait_alu 0xfffd
	v_add_co_ci_u32_e64 v85, null, s9, v81, vcc_lo
	s_clause 0x2
	global_load_b128 v[76:79], v[76:77], off
	global_load_b128 v[80:83], v[82:83], off
	;; [unrolled: 1-line block ×3, first 2 shown]
	s_mov_b32 s13, 0
	s_wait_loadcnt 0x7
	v_mul_f64_e64 v[88:89], v[33:34], -v[15:16]
	v_mul_f64_e32 v[33:34], v[13:14], v[33:34]
	s_wait_loadcnt 0x6
	v_mul_f64_e64 v[90:91], v[62:63], -v[15:16]
	v_mul_f64_e32 v[62:63], v[13:14], v[62:63]
	;; [unrolled: 3-line block ×8, first 2 shown]
	v_fma_f64 v[86:87], v[13:14], v[31:32], v[88:89]
	v_fma_f64 v[88:89], v[15:16], v[31:32], v[33:34]
	;; [unrolled: 1-line block ×16, first 2 shown]
	ds_store_b128 v18, v[86:89] offset:16
	ds_store_b128 v18, v[31:34] offset:32
	;; [unrolled: 1-line block ×8, first 2 shown]
.LBB26_17:                              ;   in Loop: Header=BB26_12 Depth=2
	s_and_not1_b32 vcc_lo, exec_lo, s13
	s_wait_alu 0xfffe
	s_cbranch_vccnz .LBB26_19
; %bb.18:                               ;   in Loop: Header=BB26_12 Depth=2
	v_dual_mov_b32 v31, v21 :: v_dual_mov_b32 v12, v21
	v_dual_mov_b32 v29, v21 :: v_dual_mov_b32 v10, v21
	v_mov_b32_e32 v27, v21
	s_delay_alu instid0(VALU_DEP_3) | instskip(SKIP_1) | instid1(VALU_DEP_4)
	v_lshlrev_b64_e32 v[30:31], 4, v[30:31]
	v_mov_b32_e32 v25, v21
	v_lshlrev_b64_e32 v[28:29], 4, v[28:29]
	v_lshlrev_b64_e32 v[34:35], 4, v[20:21]
	;; [unrolled: 1-line block ×3, first 2 shown]
	v_mov_b32_e32 v23, v21
	v_add_co_u32 v30, vcc_lo, s8, v30
	s_wait_alu 0xfffd
	v_add_co_ci_u32_e64 v31, null, s9, v31, vcc_lo
	v_add_co_u32 v32, vcc_lo, s8, v28
	v_lshlrev_b64_e32 v[24:25], 4, v[24:25]
	s_wait_alu 0xfffd
	v_add_co_ci_u32_e64 v33, null, s9, v29, vcc_lo
	v_add_co_u32 v34, vcc_lo, s8, v34
	s_wait_alu 0xfffd
	v_add_co_ci_u32_e64 v35, null, s9, v35, vcc_lo
	v_add_co_u32 v60, vcc_lo, s8, v60
	v_lshlrev_b64_e32 v[68:69], 4, v[22:23]
	s_wait_alu 0xfffd
	v_add_co_ci_u32_e64 v61, null, s9, v61, vcc_lo
	v_add_co_u32 v64, vcc_lo, s8, v24
	s_wait_alu 0xfffd
	v_add_co_ci_u32_e64 v65, null, s9, v25, vcc_lo
	s_clause 0x4
	global_load_b128 v[26:29], v[30:31], off
	global_load_b128 v[30:33], v[32:33], off
	;; [unrolled: 1-line block ×5, first 2 shown]
	v_lshlrev_b64_e32 v[11:12], 4, v[11:12]
	v_add_co_u32 v34, vcc_lo, s8, v68
	s_wait_alu 0xfffd
	v_add_co_ci_u32_e64 v35, null, s9, v69, vcc_lo
	v_lshlrev_b64_e32 v[68:69], 4, v[9:10]
	s_delay_alu instid0(VALU_DEP_4) | instskip(SKIP_2) | instid1(VALU_DEP_3)
	v_add_co_u32 v10, vcc_lo, s8, v11
	s_wait_alu 0xfffd
	v_add_co_ci_u32_e64 v11, null, s9, v12, vcc_lo
	v_add_co_u32 v76, vcc_lo, s8, v68
	s_wait_alu 0xfffd
	v_add_co_ci_u32_e64 v77, null, s9, v69, vcc_lo
	s_clause 0x2
	global_load_b128 v[68:71], v[34:35], off
	global_load_b128 v[72:75], v[10:11], off
	;; [unrolled: 1-line block ×3, first 2 shown]
	s_wait_loadcnt 0x7
	v_mul_f64_e64 v[80:81], v[28:29], -v[15:16]
	s_wait_loadcnt 0x5
	v_mul_f64_e64 v[10:11], v[24:25], -v[15:16]
	v_mul_f64_e32 v[24:25], v[13:14], v[24:25]
	v_mul_f64_e32 v[28:29], v[13:14], v[28:29]
	v_mul_f64_e64 v[82:83], v[32:33], -v[15:16]
	v_mul_f64_e32 v[84:85], v[13:14], v[32:33]
	s_wait_loadcnt 0x4
	v_mul_f64_e64 v[86:87], v[62:63], -v[15:16]
	v_mul_f64_e32 v[62:63], v[13:14], v[62:63]
	s_wait_loadcnt 0x3
	;; [unrolled: 3-line block ×5, first 2 shown]
	v_mul_f64_e64 v[94:95], v[78:79], -v[15:16]
	v_mul_f64_e32 v[96:97], v[13:14], v[78:79]
	v_fma_f64 v[32:33], v[13:14], v[22:23], v[10:11]
	v_fma_f64 v[34:35], v[15:16], v[22:23], v[24:25]
	v_fma_f64 v[22:23], v[13:14], v[26:27], v[80:81]
	v_fma_f64 v[24:25], v[15:16], v[26:27], v[28:29]
	v_fma_f64 v[26:27], v[13:14], v[30:31], v[82:83]
	v_fma_f64 v[28:29], v[15:16], v[30:31], v[84:85]
	v_fma_f64 v[78:79], v[13:14], v[60:61], v[86:87]
	v_fma_f64 v[80:81], v[15:16], v[60:61], v[62:63]
	v_fma_f64 v[60:61], v[13:14], v[64:65], v[88:89]
	v_fma_f64 v[62:63], v[15:16], v[64:65], v[66:67]
	v_fma_f64 v[64:65], v[13:14], v[68:69], v[90:91]
	v_fma_f64 v[66:67], v[15:16], v[68:69], v[70:71]
	v_fma_f64 v[68:69], v[13:14], v[72:73], v[92:93]
	v_fma_f64 v[70:71], v[15:16], v[72:73], v[74:75]
	v_fma_f64 v[72:73], v[13:14], v[76:77], v[94:95]
	v_fma_f64 v[74:75], v[15:16], v[76:77], v[96:97]
	ds_store_b128 v18, v[22:25] offset:16
	ds_store_b128 v18, v[26:29] offset:32
	;; [unrolled: 1-line block ×8, first 2 shown]
.LBB26_19:                              ;   in Loop: Header=BB26_12 Depth=2
	s_or_b32 exec_lo, exec_lo, s12
	s_mov_b32 s12, -1
	s_and_saveexec_b32 s13, s0
	s_cbranch_execz .LBB26_11
; %bb.20:                               ;   in Loop: Header=BB26_12 Depth=2
	v_add_nc_u32_e32 v17, 32, v17
	v_add_nc_u32_e32 v9, 0x120, v9
	s_delay_alu instid0(VALU_DEP_2)
	v_cmp_ge_i32_e32 vcc_lo, v17, v0
	s_or_not1_b32 s12, vcc_lo, exec_lo
	s_branch .LBB26_11
.LBB26_21:                              ;   in Loop: Header=BB26_9 Depth=1
	s_or_b32 exec_lo, exec_lo, s7
.LBB26_22:                              ;   in Loop: Header=BB26_9 Depth=1
	s_wait_alu 0xfffe
	s_or_b32 exec_lo, exec_lo, s6
	s_delay_alu instid0(SALU_CYCLE_1)
	s_mov_b32 s6, exec_lo
	s_wait_loadcnt_dscnt 0x0
	global_inv scope:SCOPE_SE
	v_cmpx_lt_i32_e64 v19, v38
	s_cbranch_execz .LBB26_35
; %bb.23:                               ;   in Loop: Header=BB26_9 Depth=1
	v_mad_co_u64_u32 v[22:23], null, v19, 9, 8
	s_mov_b32 s7, 0
	s_branch .LBB26_25
.LBB26_24:                              ;   in Loop: Header=BB26_25 Depth=2
	s_or_b32 exec_lo, exec_lo, s13
	s_delay_alu instid0(SALU_CYCLE_1)
	s_and_b32 s0, exec_lo, s12
	s_wait_alu 0xfffe
	s_or_b32 s7, s0, s7
	s_wait_alu 0xfffe
	s_and_not1_b32 exec_lo, exec_lo, s7
	s_cbranch_execz .LBB26_34
.LBB26_25:                              ;   Parent Loop BB26_9 Depth=1
                                        ; =>  This Inner Loop Header: Depth=2
	v_ashrrev_i32_e32 v20, 31, v19
	s_mov_b32 s12, exec_lo
	s_wait_dscnt 0x2
	s_delay_alu instid0(VALU_DEP_1) | instskip(NEXT) | instid1(VALU_DEP_1)
	v_lshlrev_b64_e32 v[9:10], 2, v[19:20]
	v_add_co_u32 v9, vcc_lo, s14, v9
	s_wait_alu 0xfffd
	s_delay_alu instid0(VALU_DEP_2) | instskip(SKIP_3) | instid1(VALU_DEP_1)
	v_add_co_ci_u32_e64 v10, null, s15, v10, vcc_lo
	global_load_b32 v9, v[9:10], off
	s_wait_loadcnt 0x0
	v_subrev_nc_u32_e32 v9, s5, v9
	v_sub_nc_u32_e32 v23, v9, v59
	s_delay_alu instid0(VALU_DEP_1)
	v_cmp_gt_u32_e64 s0, 32, v23
	v_cmpx_lt_u32_e32 31, v23
	s_xor_b32 s12, exec_lo, s12
; %bb.26:                               ;   in Loop: Header=BB26_25 Depth=2
	v_min_i32_e32 v58, v9, v58
                                        ; implicit-def: $vgpr23
; %bb.27:                               ;   in Loop: Header=BB26_25 Depth=2
	s_and_not1_saveexec_b32 s12, s12
	s_cbranch_execz .LBB26_32
; %bb.28:                               ;   in Loop: Header=BB26_25 Depth=2
	v_add_nc_u32_e32 v20, -8, v22
	v_add_nc_u32_e32 v34, -7, v22
	v_add_nc_u32_e32 v32, -6, v22
	s_mov_b32 s13, -1
	s_delay_alu instid0(VALU_DEP_3) | instskip(SKIP_2) | instid1(VALU_DEP_2)
	v_lshlrev_b64_e32 v[9:10], 4, v[20:21]
	v_add_nc_u32_e32 v20, -5, v22
	s_wait_kmcnt 0x0
	v_add_co_u32 v9, vcc_lo, s2, v9
	s_wait_alu 0xfffd
	s_delay_alu instid0(VALU_DEP_3) | instskip(SKIP_4) | instid1(VALU_DEP_2)
	v_add_co_ci_u32_e64 v10, null, s3, v10, vcc_lo
	s_and_not1_b32 vcc_lo, exec_lo, s1
	global_load_b128 v[24:27], v[9:10], off
	v_mul_lo_u32 v9, 0x90, v23
	v_add_nc_u32_e32 v23, v37, v23
	v_add_nc_u32_e32 v18, v36, v9
	ds_load_b128 v[28:31], v18
	ds_load_b128 v[9:12], v18 offset:16
	s_wait_loadcnt_dscnt 0x1
	v_fma_f64 v[28:29], v[1:2], v[24:25], v[28:29]
	v_fma_f64 v[24:25], v[3:4], v[24:25], v[30:31]
	v_add_nc_u32_e32 v30, -4, v22
	s_delay_alu instid0(VALU_DEP_3) | instskip(NEXT) | instid1(VALU_DEP_3)
	v_fma_f64 v[60:61], -v[3:4], v[26:27], v[28:29]
	v_fma_f64 v[62:63], v[1:2], v[26:27], v[24:25]
	v_add_nc_u32_e32 v26, -2, v22
	v_add_nc_u32_e32 v24, -1, v22
	;; [unrolled: 1-line block ×3, first 2 shown]
	ds_store_b8 v23, v57
	ds_store_b128 v18, v[60:63]
	s_wait_alu 0xfffe
	s_cbranch_vccnz .LBB26_30
; %bb.29:                               ;   in Loop: Header=BB26_25 Depth=2
	v_mov_b32_e32 v27, v21
	v_mov_b32_e32 v35, v21
	v_lshlrev_b64_e32 v[60:61], 4, v[20:21]
	v_mov_b32_e32 v31, v21
	v_mov_b32_e32 v25, v21
	v_lshlrev_b64_e32 v[62:63], 4, v[26:27]
	v_lshlrev_b64_e32 v[68:69], 4, v[34:35]
	v_mov_b32_e32 v33, v21
	v_add_co_u32 v60, vcc_lo, s2, v60
	v_lshlrev_b64_e32 v[70:71], 4, v[30:31]
	v_mov_b32_e32 v29, v21
	s_wait_alu 0xfffd
	v_add_co_ci_u32_e64 v61, null, s3, v61, vcc_lo
	v_add_co_u32 v64, vcc_lo, s2, v62
	v_lshlrev_b64_e32 v[72:73], 4, v[24:25]
	v_mov_b32_e32 v23, v21
	s_wait_alu 0xfffd
	v_add_co_ci_u32_e64 v65, null, s3, v63, vcc_lo
	v_add_co_u32 v68, vcc_lo, s2, v68
	v_lshlrev_b64_e32 v[80:81], 4, v[32:33]
	s_wait_alu 0xfffd
	v_add_co_ci_u32_e64 v69, null, s3, v69, vcc_lo
	v_add_co_u32 v74, vcc_lo, s2, v70
	v_lshlrev_b64_e32 v[82:83], 4, v[28:29]
	;; [unrolled: 4-line block ×3, first 2 shown]
	s_wait_alu 0xfffd
	v_add_co_ci_u32_e64 v77, null, s3, v73, vcc_lo
	v_add_co_u32 v80, vcc_lo, s2, v80
	s_wait_alu 0xfffd
	v_add_co_ci_u32_e64 v81, null, s3, v81, vcc_lo
	v_add_co_u32 v86, vcc_lo, s2, v82
	s_clause 0x1
	global_load_b128 v[60:63], v[60:61], off
	global_load_b128 v[64:67], v[64:65], off
	s_wait_alu 0xfffd
	v_add_co_ci_u32_e64 v87, null, s3, v83, vcc_lo
	v_add_co_u32 v88, vcc_lo, s2, v84
	s_clause 0x2
	global_load_b128 v[68:71], v[68:69], off
	global_load_b128 v[72:75], v[74:75], off
	;; [unrolled: 1-line block ×3, first 2 shown]
	s_wait_alu 0xfffd
	v_add_co_ci_u32_e64 v89, null, s3, v85, vcc_lo
	s_clause 0x2
	global_load_b128 v[80:83], v[80:81], off
	global_load_b128 v[84:87], v[86:87], off
	;; [unrolled: 1-line block ×3, first 2 shown]
	ds_load_b128 v[92:95], v18 offset:32
	ds_load_b128 v[96:99], v18 offset:48
	;; [unrolled: 1-line block ×7, first 2 shown]
	s_mov_b32 s13, 0
	s_wait_loadcnt_dscnt 0x709
	v_fma_f64 v[120:121], v[1:2], v[60:61], v[9:10]
	v_fma_f64 v[122:123], v[3:4], v[60:61], v[11:12]
	s_wait_loadcnt_dscnt 0x606
	v_fma_f64 v[92:93], v[1:2], v[64:65], v[92:93]
	v_fma_f64 v[94:95], v[3:4], v[64:65], v[94:95]
	;; [unrolled: 3-line block ×8, first 2 shown]
	v_fma_f64 v[60:61], -v[3:4], v[62:63], v[120:121]
	v_fma_f64 v[62:63], v[1:2], v[62:63], v[122:123]
	v_fma_f64 v[64:65], -v[3:4], v[66:67], v[92:93]
	v_fma_f64 v[66:67], v[1:2], v[66:67], v[94:95]
	;; [unrolled: 2-line block ×8, first 2 shown]
	ds_store_b128 v18, v[60:63] offset:16
	ds_store_b128 v18, v[64:67] offset:32
	;; [unrolled: 1-line block ×8, first 2 shown]
.LBB26_30:                              ;   in Loop: Header=BB26_25 Depth=2
	s_and_not1_b32 vcc_lo, exec_lo, s13
	s_wait_alu 0xfffe
	s_cbranch_vccnz .LBB26_32
; %bb.31:                               ;   in Loop: Header=BB26_25 Depth=2
	v_mov_b32_e32 v35, v21
	v_mov_b32_e32 v33, v21
	v_mov_b32_e32 v31, v21
	v_mov_b32_e32 v29, v21
	v_lshlrev_b64_e32 v[64:65], 4, v[20:21]
	v_lshlrev_b64_e32 v[34:35], 4, v[34:35]
	;; [unrolled: 1-line block ×5, first 2 shown]
	v_mov_b32_e32 v27, v21
	v_mov_b32_e32 v25, v21
	v_add_co_u32 v34, vcc_lo, s2, v34
	s_wait_alu 0xfffd
	v_add_co_ci_u32_e64 v35, null, s3, v35, vcc_lo
	v_add_co_u32 v60, vcc_lo, s2, v32
	s_wait_alu 0xfffd
	v_add_co_ci_u32_e64 v61, null, s3, v33, vcc_lo
	s_clause 0x1
	global_load_b128 v[30:33], v[34:35], off
	global_load_b128 v[60:63], v[60:61], off
	v_add_co_u32 v34, vcc_lo, s2, v64
	s_wait_alu 0xfffd
	v_add_co_ci_u32_e64 v35, null, s3, v65, vcc_lo
	v_add_co_u32 v64, vcc_lo, s2, v66
	v_lshlrev_b64_e32 v[72:73], 4, v[26:27]
	s_wait_alu 0xfffd
	v_add_co_ci_u32_e64 v65, null, s3, v67, vcc_lo
	v_add_co_u32 v68, vcc_lo, s2, v28
	s_wait_alu 0xfffd
	v_add_co_ci_u32_e64 v69, null, s3, v29, vcc_lo
	v_mov_b32_e32 v23, v21
	s_clause 0x2
	global_load_b128 v[26:29], v[34:35], off
	global_load_b128 v[64:67], v[64:65], off
	;; [unrolled: 1-line block ×3, first 2 shown]
	v_lshlrev_b64_e32 v[24:25], 4, v[24:25]
	v_add_co_u32 v34, vcc_lo, s2, v72
	s_wait_alu 0xfffd
	v_add_co_ci_u32_e64 v35, null, s3, v73, vcc_lo
	v_lshlrev_b64_e32 v[72:73], 4, v[22:23]
	s_delay_alu instid0(VALU_DEP_4) | instskip(SKIP_2) | instid1(VALU_DEP_3)
	v_add_co_u32 v23, vcc_lo, s2, v24
	s_wait_alu 0xfffd
	v_add_co_ci_u32_e64 v24, null, s3, v25, vcc_lo
	v_add_co_u32 v80, vcc_lo, s2, v72
	s_wait_alu 0xfffd
	v_add_co_ci_u32_e64 v81, null, s3, v73, vcc_lo
	s_clause 0x2
	global_load_b128 v[72:75], v[34:35], off
	global_load_b128 v[76:79], v[23:24], off
	;; [unrolled: 1-line block ×3, first 2 shown]
	ds_load_b128 v[84:87], v18 offset:48
	ds_load_b128 v[88:91], v18 offset:32
	;; [unrolled: 1-line block ×7, first 2 shown]
	s_wait_loadcnt_dscnt 0x709
	v_fma_f64 v[34:35], v[1:2], v[30:31], v[9:10]
	v_fma_f64 v[30:31], v[3:4], v[30:31], v[11:12]
	s_wait_loadcnt_dscnt 0x506
	v_fma_f64 v[23:24], v[1:2], v[26:27], v[84:85]
	v_fma_f64 v[25:26], v[3:4], v[26:27], v[86:87]
	s_wait_dscnt 0x5
	v_fma_f64 v[84:85], v[1:2], v[60:61], v[88:89]
	v_fma_f64 v[60:61], v[3:4], v[60:61], v[90:91]
	s_wait_loadcnt_dscnt 0x404
	v_fma_f64 v[86:87], v[1:2], v[64:65], v[92:93]
	v_fma_f64 v[64:65], v[3:4], v[64:65], v[94:95]
	s_wait_loadcnt_dscnt 0x303
	;; [unrolled: 3-line block ×5, first 2 shown]
	v_fma_f64 v[94:95], v[1:2], v[80:81], v[108:109]
	v_fma_f64 v[80:81], v[3:4], v[80:81], v[110:111]
	v_fma_f64 v[9:10], -v[3:4], v[28:29], v[23:24]
	v_fma_f64 v[11:12], v[1:2], v[28:29], v[25:26]
	v_fma_f64 v[23:24], -v[3:4], v[32:33], v[34:35]
	;; [unrolled: 2-line block ×8, first 2 shown]
	v_fma_f64 v[74:75], v[1:2], v[82:83], v[80:81]
	ds_store_b128 v18, v[23:26] offset:16
	ds_store_b128 v18, v[27:30] offset:32
	;; [unrolled: 1-line block ×8, first 2 shown]
.LBB26_32:                              ;   in Loop: Header=BB26_25 Depth=2
	s_or_b32 exec_lo, exec_lo, s12
	s_mov_b32 s12, -1
	s_and_saveexec_b32 s13, s0
	s_cbranch_execz .LBB26_24
; %bb.33:                               ;   in Loop: Header=BB26_25 Depth=2
	v_add_nc_u32_e32 v19, 32, v19
	v_add_nc_u32_e32 v22, 0x120, v22
	s_delay_alu instid0(VALU_DEP_2)
	v_cmp_ge_i32_e32 vcc_lo, v19, v38
	s_or_not1_b32 s12, vcc_lo, exec_lo
	s_branch .LBB26_24
.LBB26_34:                              ;   in Loop: Header=BB26_9 Depth=1
	s_or_b32 exec_lo, exec_lo, s7
.LBB26_35:                              ;   in Loop: Header=BB26_9 Depth=1
	s_wait_alu 0xfffe
	s_or_b32 exec_lo, exec_lo, s6
	s_wait_loadcnt_dscnt 0x0
	global_inv scope:SCOPE_SE
	ds_load_u8 v9, v56
	s_mov_b32 s6, exec_lo
	s_wait_dscnt 0x0
	v_and_b32_e32 v10, 1, v9
	v_cmp_ne_u16_e32 vcc_lo, 0, v9
	s_delay_alu instid0(VALU_DEP_2)
	v_cmpx_eq_u32_e32 1, v10
	s_cbranch_execz .LBB26_8
; %bb.36:                               ;   in Loop: Header=BB26_9 Depth=1
	s_wait_alu 0xfffd
	v_dual_mov_b32 v24, v21 :: v_dual_and_b32 v9, vcc_lo, v41
	v_add_nc_u32_e32 v18, v42, v59
	s_delay_alu instid0(VALU_DEP_2) | instskip(NEXT) | instid1(VALU_DEP_1)
	v_bcnt_u32_b32 v9, v9, 0
	v_add3_u32 v22, v39, v9, -1
	ds_load_2addr_b64 v[9:12], v40 offset1:1
	v_ashrrev_i32_e32 v23, 31, v22
	v_lshl_add_u32 v20, v22, 3, v22
	v_mov_b32_e32 v26, v21
	v_mov_b32_e32 v28, v21
	s_delay_alu instid0(VALU_DEP_4) | instskip(NEXT) | instid1(VALU_DEP_4)
	v_lshlrev_b64_e32 v[29:30], 2, v[22:23]
	v_add_nc_u32_e32 v23, 1, v20
	v_lshlrev_b64_e32 v[31:32], 4, v[20:21]
	v_add_nc_u32_e32 v25, 2, v20
	v_add_nc_u32_e32 v27, 3, v20
	;; [unrolled: 1-line block ×3, first 2 shown]
	v_lshlrev_b64_e32 v[23:24], 4, v[23:24]
	s_wait_kmcnt 0x0
	v_add_co_u32 v29, s0, s16, v29
	s_wait_alu 0xf1ff
	v_add_co_ci_u32_e64 v30, null, s17, v30, s0
	v_add_co_u32 v34, s0, s18, v31
	v_lshlrev_b64_e32 v[25:26], 4, v[25:26]
	s_wait_alu 0xf1ff
	v_add_co_ci_u32_e64 v35, null, s19, v32, s0
	v_add_co_u32 v79, s0, s18, v23
	v_mov_b32_e32 v23, v21
	v_lshlrev_b64_e32 v[27:28], 4, v[27:28]
	s_wait_alu 0xf1ff
	v_add_co_ci_u32_e64 v80, null, s19, v24, s0
	v_add_co_u32 v81, s0, s18, v25
	v_mov_b32_e32 v25, v21
	v_lshlrev_b64_e32 v[22:23], 4, v[22:23]
	v_add_nc_u32_e32 v24, 5, v20
	s_wait_alu 0xf1ff
	v_add_co_ci_u32_e64 v82, null, s19, v26, s0
	v_add_co_u32 v83, s0, s18, v27
	s_wait_alu 0xf1ff
	v_add_co_ci_u32_e64 v84, null, s19, v28, s0
	v_add_co_u32 v85, s0, s18, v22
	s_wait_alu 0xf1ff
	v_add_co_ci_u32_e64 v86, null, s19, v23, s0
	v_mov_b32_e32 v27, v21
	v_lshlrev_b64_e32 v[22:23], 4, v[24:25]
	v_add_nc_u32_e32 v24, 6, v20
	v_add_nc_u32_e32 v26, 7, v20
	global_store_b32 v[29:30], v18, off
	v_add_nc_u32_e32 v20, 8, v20
	v_add_co_u32 v87, s0, s18, v22
	s_wait_alu 0xf1ff
	v_add_co_ci_u32_e64 v88, null, s19, v23, s0
	v_lshlrev_b64_e32 v[89:90], 4, v[24:25]
	v_lshlrev_b64_e32 v[91:92], 4, v[26:27]
	ds_load_2addr_b64 v[22:25], v50 offset1:1
	ds_load_2addr_b64 v[26:29], v51 offset1:1
	ds_load_2addr_b64 v[30:33], v52 offset1:1
	ds_load_2addr_b64 v[59:62], v44 offset1:1
	ds_load_2addr_b64 v[63:66], v53 offset1:1
	ds_load_2addr_b64 v[67:70], v54 offset1:1
	ds_load_2addr_b64 v[71:74], v55 offset1:1
	ds_load_2addr_b64 v[75:78], v45 offset1:1
	v_lshlrev_b64_e32 v[93:94], 4, v[20:21]
	v_add_co_u32 v89, s0, s18, v89
	s_wait_alu 0xf1ff
	v_add_co_ci_u32_e64 v90, null, s19, v90, s0
	v_add_co_u32 v91, s0, s18, v91
	s_wait_alu 0xf1ff
	v_add_co_ci_u32_e64 v92, null, s19, v92, s0
	;; [unrolled: 3-line block ×3, first 2 shown]
	s_wait_dscnt 0x8
	global_store_b128 v[34:35], v[9:12], off
	s_wait_dscnt 0x7
	global_store_b128 v[79:80], v[22:25], off
	;; [unrolled: 2-line block ×9, first 2 shown]
	s_branch .LBB26_8
.LBB26_37:
	s_endpgm
	.section	.rodata,"a",@progbits
	.p2align	6, 0x0
	.amdhsa_kernel _ZN9rocsparseL39bsrgeam_wf_per_row_multipass_2_3_kernelILj256ELj3ELj32E21rocsparse_complex_numIdEEEv20rocsparse_direction_iiiNS_24const_host_device_scalarIT2_EEPKiS8_PKS5_S6_S8_S8_SA_S8_PiPS5_21rocsparse_index_base_SD_SD_b
		.amdhsa_group_segment_fixed_size 37120
		.amdhsa_private_segment_fixed_size 16
		.amdhsa_kernarg_size 136
		.amdhsa_user_sgpr_count 2
		.amdhsa_user_sgpr_dispatch_ptr 0
		.amdhsa_user_sgpr_queue_ptr 0
		.amdhsa_user_sgpr_kernarg_segment_ptr 1
		.amdhsa_user_sgpr_dispatch_id 0
		.amdhsa_user_sgpr_private_segment_size 0
		.amdhsa_wavefront_size32 1
		.amdhsa_uses_dynamic_stack 0
		.amdhsa_enable_private_segment 1
		.amdhsa_system_sgpr_workgroup_id_x 1
		.amdhsa_system_sgpr_workgroup_id_y 0
		.amdhsa_system_sgpr_workgroup_id_z 0
		.amdhsa_system_sgpr_workgroup_info 0
		.amdhsa_system_vgpr_workitem_id 0
		.amdhsa_next_free_vgpr 217
		.amdhsa_next_free_sgpr 27
		.amdhsa_reserve_vcc 1
		.amdhsa_float_round_mode_32 0
		.amdhsa_float_round_mode_16_64 0
		.amdhsa_float_denorm_mode_32 3
		.amdhsa_float_denorm_mode_16_64 3
		.amdhsa_fp16_overflow 0
		.amdhsa_workgroup_processor_mode 1
		.amdhsa_memory_ordered 1
		.amdhsa_forward_progress 1
		.amdhsa_inst_pref_size 42
		.amdhsa_round_robin_scheduling 0
		.amdhsa_exception_fp_ieee_invalid_op 0
		.amdhsa_exception_fp_denorm_src 0
		.amdhsa_exception_fp_ieee_div_zero 0
		.amdhsa_exception_fp_ieee_overflow 0
		.amdhsa_exception_fp_ieee_underflow 0
		.amdhsa_exception_fp_ieee_inexact 0
		.amdhsa_exception_int_div_zero 0
	.end_amdhsa_kernel
	.section	.text._ZN9rocsparseL39bsrgeam_wf_per_row_multipass_2_3_kernelILj256ELj3ELj32E21rocsparse_complex_numIdEEEv20rocsparse_direction_iiiNS_24const_host_device_scalarIT2_EEPKiS8_PKS5_S6_S8_S8_SA_S8_PiPS5_21rocsparse_index_base_SD_SD_b,"axG",@progbits,_ZN9rocsparseL39bsrgeam_wf_per_row_multipass_2_3_kernelILj256ELj3ELj32E21rocsparse_complex_numIdEEEv20rocsparse_direction_iiiNS_24const_host_device_scalarIT2_EEPKiS8_PKS5_S6_S8_S8_SA_S8_PiPS5_21rocsparse_index_base_SD_SD_b,comdat
.Lfunc_end26:
	.size	_ZN9rocsparseL39bsrgeam_wf_per_row_multipass_2_3_kernelILj256ELj3ELj32E21rocsparse_complex_numIdEEEv20rocsparse_direction_iiiNS_24const_host_device_scalarIT2_EEPKiS8_PKS5_S6_S8_S8_SA_S8_PiPS5_21rocsparse_index_base_SD_SD_b, .Lfunc_end26-_ZN9rocsparseL39bsrgeam_wf_per_row_multipass_2_3_kernelILj256ELj3ELj32E21rocsparse_complex_numIdEEEv20rocsparse_direction_iiiNS_24const_host_device_scalarIT2_EEPKiS8_PKS5_S6_S8_S8_SA_S8_PiPS5_21rocsparse_index_base_SD_SD_b
                                        ; -- End function
	.set _ZN9rocsparseL39bsrgeam_wf_per_row_multipass_2_3_kernelILj256ELj3ELj32E21rocsparse_complex_numIdEEEv20rocsparse_direction_iiiNS_24const_host_device_scalarIT2_EEPKiS8_PKS5_S6_S8_S8_SA_S8_PiPS5_21rocsparse_index_base_SD_SD_b.num_vgpr, 124
	.set _ZN9rocsparseL39bsrgeam_wf_per_row_multipass_2_3_kernelILj256ELj3ELj32E21rocsparse_complex_numIdEEEv20rocsparse_direction_iiiNS_24const_host_device_scalarIT2_EEPKiS8_PKS5_S6_S8_S8_SA_S8_PiPS5_21rocsparse_index_base_SD_SD_b.num_agpr, 0
	.set _ZN9rocsparseL39bsrgeam_wf_per_row_multipass_2_3_kernelILj256ELj3ELj32E21rocsparse_complex_numIdEEEv20rocsparse_direction_iiiNS_24const_host_device_scalarIT2_EEPKiS8_PKS5_S6_S8_S8_SA_S8_PiPS5_21rocsparse_index_base_SD_SD_b.numbered_sgpr, 27
	.set _ZN9rocsparseL39bsrgeam_wf_per_row_multipass_2_3_kernelILj256ELj3ELj32E21rocsparse_complex_numIdEEEv20rocsparse_direction_iiiNS_24const_host_device_scalarIT2_EEPKiS8_PKS5_S6_S8_S8_SA_S8_PiPS5_21rocsparse_index_base_SD_SD_b.num_named_barrier, 0
	.set _ZN9rocsparseL39bsrgeam_wf_per_row_multipass_2_3_kernelILj256ELj3ELj32E21rocsparse_complex_numIdEEEv20rocsparse_direction_iiiNS_24const_host_device_scalarIT2_EEPKiS8_PKS5_S6_S8_S8_SA_S8_PiPS5_21rocsparse_index_base_SD_SD_b.private_seg_size, 16
	.set _ZN9rocsparseL39bsrgeam_wf_per_row_multipass_2_3_kernelILj256ELj3ELj32E21rocsparse_complex_numIdEEEv20rocsparse_direction_iiiNS_24const_host_device_scalarIT2_EEPKiS8_PKS5_S6_S8_S8_SA_S8_PiPS5_21rocsparse_index_base_SD_SD_b.uses_vcc, 1
	.set _ZN9rocsparseL39bsrgeam_wf_per_row_multipass_2_3_kernelILj256ELj3ELj32E21rocsparse_complex_numIdEEEv20rocsparse_direction_iiiNS_24const_host_device_scalarIT2_EEPKiS8_PKS5_S6_S8_S8_SA_S8_PiPS5_21rocsparse_index_base_SD_SD_b.uses_flat_scratch, 0
	.set _ZN9rocsparseL39bsrgeam_wf_per_row_multipass_2_3_kernelILj256ELj3ELj32E21rocsparse_complex_numIdEEEv20rocsparse_direction_iiiNS_24const_host_device_scalarIT2_EEPKiS8_PKS5_S6_S8_S8_SA_S8_PiPS5_21rocsparse_index_base_SD_SD_b.has_dyn_sized_stack, 0
	.set _ZN9rocsparseL39bsrgeam_wf_per_row_multipass_2_3_kernelILj256ELj3ELj32E21rocsparse_complex_numIdEEEv20rocsparse_direction_iiiNS_24const_host_device_scalarIT2_EEPKiS8_PKS5_S6_S8_S8_SA_S8_PiPS5_21rocsparse_index_base_SD_SD_b.has_recursion, 0
	.set _ZN9rocsparseL39bsrgeam_wf_per_row_multipass_2_3_kernelILj256ELj3ELj32E21rocsparse_complex_numIdEEEv20rocsparse_direction_iiiNS_24const_host_device_scalarIT2_EEPKiS8_PKS5_S6_S8_S8_SA_S8_PiPS5_21rocsparse_index_base_SD_SD_b.has_indirect_call, 0
	.section	.AMDGPU.csdata,"",@progbits
; Kernel info:
; codeLenInByte = 5336
; TotalNumSgprs: 29
; NumVgprs: 124
; ScratchSize: 16
; MemoryBound: 0
; FloatMode: 240
; IeeeMode: 1
; LDSByteSize: 37120 bytes/workgroup (compile time only)
; SGPRBlocks: 0
; VGPRBlocks: 27
; NumSGPRsForWavesPerEU: 29
; NumVGPRsForWavesPerEU: 217
; Occupancy: 6
; WaveLimiterHint : 1
; COMPUTE_PGM_RSRC2:SCRATCH_EN: 1
; COMPUTE_PGM_RSRC2:USER_SGPR: 2
; COMPUTE_PGM_RSRC2:TRAP_HANDLER: 0
; COMPUTE_PGM_RSRC2:TGID_X_EN: 1
; COMPUTE_PGM_RSRC2:TGID_Y_EN: 0
; COMPUTE_PGM_RSRC2:TGID_Z_EN: 0
; COMPUTE_PGM_RSRC2:TIDIG_COMP_CNT: 0
	.section	.text._ZN9rocsparseL39bsrgeam_wf_per_row_multipass_2_3_kernelILj256ELj3ELj64E21rocsparse_complex_numIdEEEv20rocsparse_direction_iiiNS_24const_host_device_scalarIT2_EEPKiS8_PKS5_S6_S8_S8_SA_S8_PiPS5_21rocsparse_index_base_SD_SD_b,"axG",@progbits,_ZN9rocsparseL39bsrgeam_wf_per_row_multipass_2_3_kernelILj256ELj3ELj64E21rocsparse_complex_numIdEEEv20rocsparse_direction_iiiNS_24const_host_device_scalarIT2_EEPKiS8_PKS5_S6_S8_S8_SA_S8_PiPS5_21rocsparse_index_base_SD_SD_b,comdat
	.globl	_ZN9rocsparseL39bsrgeam_wf_per_row_multipass_2_3_kernelILj256ELj3ELj64E21rocsparse_complex_numIdEEEv20rocsparse_direction_iiiNS_24const_host_device_scalarIT2_EEPKiS8_PKS5_S6_S8_S8_SA_S8_PiPS5_21rocsparse_index_base_SD_SD_b ; -- Begin function _ZN9rocsparseL39bsrgeam_wf_per_row_multipass_2_3_kernelILj256ELj3ELj64E21rocsparse_complex_numIdEEEv20rocsparse_direction_iiiNS_24const_host_device_scalarIT2_EEPKiS8_PKS5_S6_S8_S8_SA_S8_PiPS5_21rocsparse_index_base_SD_SD_b
	.p2align	8
	.type	_ZN9rocsparseL39bsrgeam_wf_per_row_multipass_2_3_kernelILj256ELj3ELj64E21rocsparse_complex_numIdEEEv20rocsparse_direction_iiiNS_24const_host_device_scalarIT2_EEPKiS8_PKS5_S6_S8_S8_SA_S8_PiPS5_21rocsparse_index_base_SD_SD_b,@function
_ZN9rocsparseL39bsrgeam_wf_per_row_multipass_2_3_kernelILj256ELj3ELj64E21rocsparse_complex_numIdEEEv20rocsparse_direction_iiiNS_24const_host_device_scalarIT2_EEPKiS8_PKS5_S6_S8_S8_SA_S8_PiPS5_21rocsparse_index_base_SD_SD_b: ; @_ZN9rocsparseL39bsrgeam_wf_per_row_multipass_2_3_kernelILj256ELj3ELj64E21rocsparse_complex_numIdEEEv20rocsparse_direction_iiiNS_24const_host_device_scalarIT2_EEPKiS8_PKS5_S6_S8_S8_SA_S8_PiPS5_21rocsparse_index_base_SD_SD_b
; %bb.0:
	s_clause 0x1
	s_load_b128 s[4:7], s[0:1], 0x78
	s_load_b128 s[8:11], s[0:1], 0x10
	s_mov_b64 s[2:3], src_private_base
	s_wait_kmcnt 0x0
	s_bitcmp1_b32 s7, 0
	v_dual_mov_b32 v1, s8 :: v_dual_mov_b32 v2, s9
	s_cselect_b32 s2, -1, 0
	v_dual_mov_b32 v16, s11 :: v_dual_mov_b32 v15, s10
	s_and_b32 vcc_lo, s2, exec_lo
	s_cselect_b32 s7, 0, s8
	s_cselect_b32 s3, s3, s9
	s_delay_alu instid0(SALU_CYCLE_1)
	v_dual_mov_b32 v3, s7 :: v_dual_mov_b32 v4, s3
	scratch_store_b64 off, v[1:2], off
	flat_load_b64 v[13:14], v[3:4]
	s_cbranch_vccnz .LBB27_2
; %bb.1:
	v_dual_mov_b32 v1, s8 :: v_dual_mov_b32 v2, s9
	flat_load_b64 v[15:16], v[1:2] offset:8
.LBB27_2:
	s_load_b96 s[24:26], s[0:1], 0x0
	v_lshrrev_b32_e32 v12, 6, v0
	s_lshl_b32 s3, ttmp9, 2
	s_wait_alu 0xfffe
	s_delay_alu instid0(VALU_DEP_1) | instskip(SKIP_2) | instid1(VALU_DEP_1)
	v_and_or_b32 v1, 0x3fffffc, s3, v12
	s_mov_b32 s3, exec_lo
	s_wait_kmcnt 0x0
	v_cmpx_gt_i32_e64 s25, v1
	s_cbranch_execz .LBB27_37
; %bb.3:
	s_clause 0x3
	s_load_b64 s[16:17], s[0:1], 0x38
	s_load_b128 s[8:11], s[0:1], 0x20
	s_load_b128 s[12:15], s[0:1], 0x48
	s_load_b64 s[18:19], s[0:1], 0x60
	s_add_nc_u64 s[20:21], s[0:1], 56
	s_and_b32 s2, s2, exec_lo
	s_wait_kmcnt 0x0
	s_cselect_b32 s2, s21, s17
	s_wait_alu 0xfffe
	v_dual_mov_b32 v2, s2 :: v_dual_lshlrev_b32 v5, 2, v1
	s_cselect_b32 s3, s20, s16
	s_wait_alu 0xfffe
	v_mov_b32_e32 v1, s3
	global_load_b64 v[6:7], v5, s[8:9]
	flat_load_b128 v[1:4], v[1:2]
	s_clause 0x1
	global_load_b64 v[8:9], v5, s[12:13]
	global_load_b32 v17, v5, s[18:19]
	s_wait_loadcnt 0x3
	v_subrev_nc_u32_e32 v5, s4, v6
	v_cmp_lt_i32_e32 vcc_lo, v6, v7
	v_mov_b32_e32 v6, s26
	s_and_saveexec_b32 s2, vcc_lo
	s_cbranch_execz .LBB27_5
; %bb.4:
	v_ashrrev_i32_e32 v6, 31, v5
	s_delay_alu instid0(VALU_DEP_1) | instskip(NEXT) | instid1(VALU_DEP_1)
	v_lshlrev_b64_e32 v[10:11], 2, v[5:6]
	v_add_co_u32 v10, vcc_lo, s10, v10
	s_delay_alu instid0(VALU_DEP_1)
	v_add_co_ci_u32_e64 v11, null, s11, v11, vcc_lo
	global_load_b32 v6, v[10:11], off
	s_wait_loadcnt 0x0
	v_subrev_nc_u32_e32 v6, s4, v6
.LBB27_5:
	s_wait_alu 0xfffe
	s_or_b32 exec_lo, exec_lo, s2
	s_clause 0x2
	s_load_b128 s[16:19], s[0:1], 0x68
	s_load_b64 s[2:3], s[0:1], 0x58
	s_load_b64 s[8:9], s[0:1], 0x30
	s_wait_loadcnt 0x1
	v_subrev_nc_u32_e32 v10, s5, v8
	v_cmp_lt_i32_e32 vcc_lo, v8, v9
	v_mov_b32_e32 v8, s26
	s_and_saveexec_b32 s0, vcc_lo
	s_cbranch_execz .LBB27_7
; %bb.6:
	v_ashrrev_i32_e32 v11, 31, v10
	s_delay_alu instid0(VALU_DEP_1) | instskip(NEXT) | instid1(VALU_DEP_1)
	v_lshlrev_b64_e32 v[18:19], 2, v[10:11]
	v_add_co_u32 v18, vcc_lo, s14, v18
	s_wait_alu 0xfffd
	s_delay_alu instid0(VALU_DEP_2)
	v_add_co_ci_u32_e64 v19, null, s15, v19, vcc_lo
	global_load_b32 v8, v[18:19], off
	s_wait_loadcnt 0x0
	v_subrev_nc_u32_e32 v8, s5, v8
.LBB27_7:
	s_or_b32 exec_lo, exec_lo, s0
	s_movk_i32 s0, 0xc0
	v_and_b32_e32 v11, 63, v0
	v_and_or_b32 v39, v0, s0, 0x9000
	v_subrev_nc_u32_e32 v0, s4, v7
	v_mbcnt_lo_u32_b32 v7, -1, 0
	s_wait_loadcnt 0x0
	v_subrev_nc_u32_e32 v41, s6, v17
	v_add_nc_u32_e32 v19, v10, v11
	v_min_i32_e32 v61, v8, v6
	v_subrev_nc_u32_e32 v40, s5, v9
	v_xor_b32_e32 v20, 8, v7
	v_add_nc_u32_e32 v17, v5, v11
	v_or_b32_e32 v5, 32, v7
	v_xor_b32_e32 v10, 16, v7
	v_xor_b32_e32 v23, 2, v7
	;; [unrolled: 1-line block ×3, first 2 shown]
	s_cmp_lg_u32 s24, 0
	v_cmp_gt_i32_e32 vcc_lo, 32, v5
	s_mov_b32 s20, 0
	s_cselect_b32 s1, -1, 0
	s_cmp_eq_u32 s24, 0
	v_mul_u32_u24_e32 v38, 0x2400, v12
	s_wait_alu 0xfffd
	v_cndmask_b32_e32 v5, v7, v5, vcc_lo
	v_cmp_gt_i32_e32 vcc_lo, 32, v10
	s_mov_b32 s21, s20
	s_mov_b32 s22, s20
	;; [unrolled: 1-line block ×3, first 2 shown]
	s_wait_alu 0xfffd
	v_dual_mov_b32 v59, 1 :: v_dual_cndmask_b32 v10, v7, v10
	v_xor_b32_e32 v6, 63, v11
	v_cmp_gt_i32_e32 vcc_lo, 32, v20
	v_mul_u32_u24_e32 v9, 0x90, v11
	v_add_nc_u32_e32 v58, v39, v11
	v_lshlrev_b32_e32 v47, 2, v10
	v_lshrrev_b64 v[21:22], v6, -1
	v_xor_b32_e32 v22, 4, v7
	s_wait_alu 0xfffd
	v_cndmask_b32_e32 v20, v7, v20, vcc_lo
	v_mad_u32_u24 v42, 0x2400, v12, v9
	s_delay_alu instid0(VALU_DEP_3) | instskip(NEXT) | instid1(VALU_DEP_2)
	v_cmp_gt_i32_e32 vcc_lo, 32, v22
	v_add_nc_u32_e32 v6, 32, v42
	v_add_nc_u32_e32 v9, 0x50, v42
	;; [unrolled: 1-line block ×3, first 2 shown]
	s_wait_alu 0xfffd
	v_cndmask_b32_e32 v22, v7, v22, vcc_lo
	v_cmp_gt_i32_e32 vcc_lo, 32, v23
	v_lshlrev_b32_e32 v44, 2, v5
	v_add_nc_u32_e32 v46, 0x80, v42
	s_delay_alu instid0(VALU_DEP_4)
	v_lshlrev_b32_e32 v49, 2, v22
	s_wait_alu 0xfffd
	v_cndmask_b32_e32 v23, v7, v23, vcc_lo
	v_cmp_gt_i32_e32 vcc_lo, 32, v24
	s_wait_alu 0xfffd
	v_dual_cndmask_b32 v7, v7, v24 :: v_dual_add_nc_u32 v8, 48, v42
	s_cselect_b32 vcc_lo, -1, 0
	v_dual_mov_b32 v23, 0 :: v_dual_lshlrev_b32 v50, 2, v23
	v_add_nc_u32_e32 v12, 0x60, v42
	v_add_nc_u32_e32 v5, 16, v42
	v_lshlrev_b32_e32 v48, 2, v20
	v_lshlrev_b32_e32 v51, 2, v7
	s_wait_alu 0xfffe
	v_dual_cndmask_b32 v53, v12, v6 :: v_dual_cndmask_b32 v56, v6, v12
	v_dual_cndmask_b32 v52, v8, v5 :: v_dual_add_nc_u32 v43, s6, v11
	v_dual_cndmask_b32 v54, v5, v8 :: v_dual_add_nc_u32 v45, 64, v42
	v_dual_mov_b32 v5, s20 :: v_dual_mov_b32 v6, s21
	v_cndmask_b32_e32 v55, v18, v9, vcc_lo
	v_cndmask_b32_e32 v57, v9, v18, vcc_lo
	v_dual_mov_b32 v7, s22 :: v_dual_mov_b32 v8, s23
	s_branch .LBB27_9
.LBB27_8:                               ;   in Loop: Header=BB27_9 Depth=1
	s_wait_alu 0xfffe
	s_or_b32 exec_lo, exec_lo, s6
	ds_bpermute_b32 v9, v44, v60
	s_bcnt1_i32_b32 s6, vcc_lo
	s_wait_alu 0xfffe
	v_add_nc_u32_e32 v41, s6, v41
	s_wait_dscnt 0x0
	v_min_i32_e32 v9, v9, v60
	ds_bpermute_b32 v10, v47, v9
	s_wait_dscnt 0x0
	v_min_i32_e32 v9, v10, v9
	ds_bpermute_b32 v10, v48, v9
	;; [unrolled: 3-line block ×5, first 2 shown]
	s_wait_dscnt 0x0
	v_min_i32_e32 v61, v10, v9
	s_delay_alu instid0(VALU_DEP_1)
	v_cmp_le_i32_e64 s0, s26, v61
	s_or_b32 s20, s0, s20
	s_wait_alu 0xfffe
	s_and_not1_b32 exec_lo, exec_lo, s20
	s_cbranch_execz .LBB27_37
.LBB27_9:                               ; =>This Loop Header: Depth=1
                                        ;     Child Loop BB27_12 Depth 2
                                        ;     Child Loop BB27_25 Depth 2
	v_mov_b32_e32 v60, s26
	s_mov_b32 s6, exec_lo
	ds_store_b128 v42, v[5:8]
	ds_store_b128 v42, v[5:8] offset:16
	ds_store_b128 v42, v[5:8] offset:32
	;; [unrolled: 1-line block ×7, first 2 shown]
	ds_store_b8 v58, v23
	ds_store_b128 v42, v[5:8] offset:128
	s_wait_storecnt_dscnt 0x0
	global_inv scope:SCOPE_SE
	v_cmpx_lt_i32_e64 v17, v0
	s_cbranch_execz .LBB27_22
; %bb.10:                               ;   in Loop: Header=BB27_9 Depth=1
	v_mad_co_u64_u32 v[9:10], null, v17, 9, 8
	v_mov_b32_e32 v60, s26
	s_mov_b32 s7, 0
	s_branch .LBB27_12
.LBB27_11:                              ;   in Loop: Header=BB27_12 Depth=2
	s_or_b32 exec_lo, exec_lo, s13
	s_delay_alu instid0(SALU_CYCLE_1)
	s_and_b32 s0, exec_lo, s12
	s_wait_alu 0xfffe
	s_or_b32 s7, s0, s7
	s_wait_alu 0xfffe
	s_and_not1_b32 exec_lo, exec_lo, s7
	s_cbranch_execz .LBB27_21
.LBB27_12:                              ;   Parent Loop BB27_9 Depth=1
                                        ; =>  This Inner Loop Header: Depth=2
	v_ashrrev_i32_e32 v18, 31, v17
	s_mov_b32 s12, exec_lo
	s_delay_alu instid0(VALU_DEP_1) | instskip(NEXT) | instid1(VALU_DEP_1)
	v_lshlrev_b64_e32 v[10:11], 2, v[17:18]
	v_add_co_u32 v10, vcc_lo, s10, v10
	s_wait_alu 0xfffd
	s_delay_alu instid0(VALU_DEP_2) | instskip(SKIP_3) | instid1(VALU_DEP_1)
	v_add_co_ci_u32_e64 v11, null, s11, v11, vcc_lo
	global_load_b32 v10, v[10:11], off
	s_wait_loadcnt 0x0
	v_subrev_nc_u32_e32 v11, s4, v10
	v_sub_nc_u32_e32 v10, v11, v61
	s_delay_alu instid0(VALU_DEP_1)
	v_cmp_gt_u32_e64 s0, 64, v10
	v_cmpx_lt_u32_e32 63, v10
	s_xor_b32 s12, exec_lo, s12
; %bb.13:                               ;   in Loop: Header=BB27_12 Depth=2
	v_min_i32_e32 v60, v11, v60
                                        ; implicit-def: $vgpr10
; %bb.14:                               ;   in Loop: Header=BB27_12 Depth=2
	s_and_not1_saveexec_b32 s12, s12
	s_cbranch_execz .LBB27_19
; %bb.15:                               ;   in Loop: Header=BB27_12 Depth=2
	v_add_nc_u32_e32 v22, -8, v9
	v_add_nc_u32_e32 v32, -7, v9
	;; [unrolled: 1-line block ×4, first 2 shown]
	s_mov_b32 s13, -1
	v_lshlrev_b64_e32 v[11:12], 4, v[22:23]
	v_add_nc_u32_e32 v22, -5, v9
	s_wait_kmcnt 0x0
	s_delay_alu instid0(VALU_DEP_2) | instskip(SKIP_1) | instid1(VALU_DEP_3)
	v_add_co_u32 v11, vcc_lo, s8, v11
	s_wait_alu 0xfffd
	v_add_co_ci_u32_e64 v12, null, s9, v12, vcc_lo
	s_and_not1_b32 vcc_lo, exec_lo, s1
	global_load_b128 v[24:27], v[11:12], off
	s_wait_loadcnt 0x0
	v_mul_f64_e64 v[11:12], v[26:27], -v[15:16]
	v_mul_f64_e32 v[26:27], v[13:14], v[26:27]
	s_delay_alu instid0(VALU_DEP_2) | instskip(NEXT) | instid1(VALU_DEP_2)
	v_fma_f64 v[33:34], v[13:14], v[24:25], v[11:12]
	v_fma_f64 v[35:36], v[15:16], v[24:25], v[26:27]
	v_mul_lo_u32 v11, 0x90, v10
	v_add_nc_u32_e32 v10, v39, v10
	v_add_nc_u32_e32 v24, -2, v9
	v_add_nc_u32_e32 v26, -3, v9
	s_delay_alu instid0(VALU_DEP_4)
	v_add_nc_u32_e32 v18, v38, v11
	v_add_nc_u32_e32 v11, -1, v9
	ds_store_b8 v10, v59
	ds_store_b128 v18, v[33:36]
	s_wait_alu 0xfffe
	s_cbranch_vccnz .LBB27_17
; %bb.16:                               ;   in Loop: Header=BB27_12 Depth=2
	v_dual_mov_b32 v25, v23 :: v_dual_mov_b32 v12, v23
	v_dual_mov_b32 v33, v23 :: v_dual_mov_b32 v10, v23
	v_lshlrev_b64_e32 v[34:35], 4, v[22:23]
	v_mov_b32_e32 v29, v23
	s_delay_alu instid0(VALU_DEP_4) | instskip(NEXT) | instid1(VALU_DEP_4)
	v_lshlrev_b64_e32 v[36:37], 4, v[24:25]
	v_lshlrev_b64_e32 v[66:67], 4, v[32:33]
	v_mov_b32_e32 v31, v23
	v_mov_b32_e32 v27, v23
	v_add_co_u32 v34, vcc_lo, s8, v34
	v_lshlrev_b64_e32 v[68:69], 4, v[28:29]
	s_wait_alu 0xfffd
	v_add_co_ci_u32_e64 v35, null, s9, v35, vcc_lo
	v_add_co_u32 v62, vcc_lo, s8, v36
	v_lshlrev_b64_e32 v[70:71], 4, v[11:12]
	s_wait_alu 0xfffd
	v_add_co_ci_u32_e64 v63, null, s9, v37, vcc_lo
	;; [unrolled: 4-line block ×5, first 2 shown]
	v_add_co_u32 v78, vcc_lo, s8, v78
	s_wait_alu 0xfffd
	v_add_co_ci_u32_e64 v79, null, s9, v79, vcc_lo
	v_add_co_u32 v84, vcc_lo, s8, v80
	s_clause 0x1
	global_load_b128 v[33:36], v[34:35], off
	global_load_b128 v[62:65], v[62:63], off
	s_wait_alu 0xfffd
	v_add_co_ci_u32_e64 v85, null, s9, v81, vcc_lo
	v_add_co_u32 v86, vcc_lo, s8, v82
	s_clause 0x2
	global_load_b128 v[66:69], v[66:67], off
	global_load_b128 v[70:73], v[72:73], off
	;; [unrolled: 1-line block ×3, first 2 shown]
	s_wait_alu 0xfffd
	v_add_co_ci_u32_e64 v87, null, s9, v83, vcc_lo
	s_clause 0x2
	global_load_b128 v[78:81], v[78:79], off
	global_load_b128 v[82:85], v[84:85], off
	;; [unrolled: 1-line block ×3, first 2 shown]
	s_mov_b32 s13, 0
	s_wait_loadcnt 0x7
	v_mul_f64_e64 v[90:91], v[35:36], -v[15:16]
	v_mul_f64_e32 v[35:36], v[13:14], v[35:36]
	s_wait_loadcnt 0x6
	v_mul_f64_e64 v[92:93], v[64:65], -v[15:16]
	v_mul_f64_e32 v[64:65], v[13:14], v[64:65]
	;; [unrolled: 3-line block ×8, first 2 shown]
	v_fma_f64 v[88:89], v[13:14], v[33:34], v[90:91]
	v_fma_f64 v[90:91], v[15:16], v[33:34], v[35:36]
	;; [unrolled: 1-line block ×16, first 2 shown]
	ds_store_b128 v18, v[88:91] offset:16
	ds_store_b128 v18, v[33:36] offset:32
	;; [unrolled: 1-line block ×8, first 2 shown]
.LBB27_17:                              ;   in Loop: Header=BB27_12 Depth=2
	s_and_not1_b32 vcc_lo, exec_lo, s13
	s_wait_alu 0xfffe
	s_cbranch_vccnz .LBB27_19
; %bb.18:                               ;   in Loop: Header=BB27_12 Depth=2
	v_dual_mov_b32 v33, v23 :: v_dual_mov_b32 v12, v23
	v_dual_mov_b32 v31, v23 :: v_dual_mov_b32 v10, v23
	v_mov_b32_e32 v29, v23
	s_delay_alu instid0(VALU_DEP_3) | instskip(SKIP_1) | instid1(VALU_DEP_4)
	v_lshlrev_b64_e32 v[32:33], 4, v[32:33]
	v_mov_b32_e32 v27, v23
	v_lshlrev_b64_e32 v[30:31], 4, v[30:31]
	v_lshlrev_b64_e32 v[36:37], 4, v[22:23]
	;; [unrolled: 1-line block ×3, first 2 shown]
	v_mov_b32_e32 v25, v23
	v_add_co_u32 v32, vcc_lo, s8, v32
	s_wait_alu 0xfffd
	v_add_co_ci_u32_e64 v33, null, s9, v33, vcc_lo
	v_add_co_u32 v34, vcc_lo, s8, v30
	v_lshlrev_b64_e32 v[26:27], 4, v[26:27]
	s_wait_alu 0xfffd
	v_add_co_ci_u32_e64 v35, null, s9, v31, vcc_lo
	v_add_co_u32 v36, vcc_lo, s8, v36
	s_wait_alu 0xfffd
	v_add_co_ci_u32_e64 v37, null, s9, v37, vcc_lo
	v_add_co_u32 v62, vcc_lo, s8, v62
	v_lshlrev_b64_e32 v[70:71], 4, v[24:25]
	s_wait_alu 0xfffd
	v_add_co_ci_u32_e64 v63, null, s9, v63, vcc_lo
	v_add_co_u32 v66, vcc_lo, s8, v26
	s_wait_alu 0xfffd
	v_add_co_ci_u32_e64 v67, null, s9, v27, vcc_lo
	s_clause 0x4
	global_load_b128 v[28:31], v[32:33], off
	global_load_b128 v[32:35], v[34:35], off
	;; [unrolled: 1-line block ×5, first 2 shown]
	v_lshlrev_b64_e32 v[11:12], 4, v[11:12]
	v_add_co_u32 v36, vcc_lo, s8, v70
	s_wait_alu 0xfffd
	v_add_co_ci_u32_e64 v37, null, s9, v71, vcc_lo
	v_lshlrev_b64_e32 v[70:71], 4, v[9:10]
	s_delay_alu instid0(VALU_DEP_4) | instskip(SKIP_2) | instid1(VALU_DEP_3)
	v_add_co_u32 v10, vcc_lo, s8, v11
	s_wait_alu 0xfffd
	v_add_co_ci_u32_e64 v11, null, s9, v12, vcc_lo
	v_add_co_u32 v78, vcc_lo, s8, v70
	s_wait_alu 0xfffd
	v_add_co_ci_u32_e64 v79, null, s9, v71, vcc_lo
	s_clause 0x2
	global_load_b128 v[70:73], v[36:37], off
	global_load_b128 v[74:77], v[10:11], off
	;; [unrolled: 1-line block ×3, first 2 shown]
	s_wait_loadcnt 0x7
	v_mul_f64_e64 v[82:83], v[30:31], -v[15:16]
	s_wait_loadcnt 0x5
	v_mul_f64_e64 v[10:11], v[26:27], -v[15:16]
	v_mul_f64_e32 v[26:27], v[13:14], v[26:27]
	v_mul_f64_e32 v[30:31], v[13:14], v[30:31]
	v_mul_f64_e64 v[84:85], v[34:35], -v[15:16]
	v_mul_f64_e32 v[86:87], v[13:14], v[34:35]
	s_wait_loadcnt 0x4
	v_mul_f64_e64 v[88:89], v[64:65], -v[15:16]
	v_mul_f64_e32 v[64:65], v[13:14], v[64:65]
	s_wait_loadcnt 0x3
	;; [unrolled: 3-line block ×5, first 2 shown]
	v_mul_f64_e64 v[96:97], v[80:81], -v[15:16]
	v_mul_f64_e32 v[98:99], v[13:14], v[80:81]
	v_fma_f64 v[34:35], v[13:14], v[24:25], v[10:11]
	v_fma_f64 v[36:37], v[15:16], v[24:25], v[26:27]
	;; [unrolled: 1-line block ×16, first 2 shown]
	ds_store_b128 v18, v[24:27] offset:16
	ds_store_b128 v18, v[28:31] offset:32
	;; [unrolled: 1-line block ×8, first 2 shown]
.LBB27_19:                              ;   in Loop: Header=BB27_12 Depth=2
	s_or_b32 exec_lo, exec_lo, s12
	s_mov_b32 s12, -1
	s_and_saveexec_b32 s13, s0
	s_cbranch_execz .LBB27_11
; %bb.20:                               ;   in Loop: Header=BB27_12 Depth=2
	v_add_nc_u32_e32 v17, 64, v17
	v_add_nc_u32_e32 v9, 0x240, v9
	s_delay_alu instid0(VALU_DEP_2)
	v_cmp_ge_i32_e32 vcc_lo, v17, v0
	s_or_not1_b32 s12, vcc_lo, exec_lo
	s_branch .LBB27_11
.LBB27_21:                              ;   in Loop: Header=BB27_9 Depth=1
	s_or_b32 exec_lo, exec_lo, s7
.LBB27_22:                              ;   in Loop: Header=BB27_9 Depth=1
	s_wait_alu 0xfffe
	s_or_b32 exec_lo, exec_lo, s6
	s_delay_alu instid0(SALU_CYCLE_1)
	s_mov_b32 s6, exec_lo
	s_wait_loadcnt_dscnt 0x0
	global_inv scope:SCOPE_SE
	v_cmpx_lt_i32_e64 v19, v40
	s_cbranch_execz .LBB27_35
; %bb.23:                               ;   in Loop: Header=BB27_9 Depth=1
	v_mad_co_u64_u32 v[24:25], null, v19, 9, 8
	s_mov_b32 s7, 0
	s_branch .LBB27_25
.LBB27_24:                              ;   in Loop: Header=BB27_25 Depth=2
	s_or_b32 exec_lo, exec_lo, s13
	s_delay_alu instid0(SALU_CYCLE_1)
	s_and_b32 s0, exec_lo, s12
	s_wait_alu 0xfffe
	s_or_b32 s7, s0, s7
	s_wait_alu 0xfffe
	s_and_not1_b32 exec_lo, exec_lo, s7
	s_cbranch_execz .LBB27_34
.LBB27_25:                              ;   Parent Loop BB27_9 Depth=1
                                        ; =>  This Inner Loop Header: Depth=2
	v_ashrrev_i32_e32 v20, 31, v19
	s_mov_b32 s12, exec_lo
	s_wait_dscnt 0x2
	s_delay_alu instid0(VALU_DEP_1) | instskip(NEXT) | instid1(VALU_DEP_1)
	v_lshlrev_b64_e32 v[9:10], 2, v[19:20]
	v_add_co_u32 v9, vcc_lo, s14, v9
	s_wait_alu 0xfffd
	s_delay_alu instid0(VALU_DEP_2) | instskip(SKIP_3) | instid1(VALU_DEP_1)
	v_add_co_ci_u32_e64 v10, null, s15, v10, vcc_lo
	global_load_b32 v9, v[9:10], off
	s_wait_loadcnt 0x0
	v_subrev_nc_u32_e32 v9, s5, v9
	v_sub_nc_u32_e32 v20, v9, v61
	s_delay_alu instid0(VALU_DEP_1)
	v_cmp_gt_u32_e64 s0, 64, v20
	v_cmpx_lt_u32_e32 63, v20
	s_xor_b32 s12, exec_lo, s12
; %bb.26:                               ;   in Loop: Header=BB27_25 Depth=2
	v_min_i32_e32 v60, v9, v60
                                        ; implicit-def: $vgpr20
; %bb.27:                               ;   in Loop: Header=BB27_25 Depth=2
	s_and_not1_saveexec_b32 s12, s12
	s_cbranch_execz .LBB27_32
; %bb.28:                               ;   in Loop: Header=BB27_25 Depth=2
	v_add_nc_u32_e32 v22, -8, v24
	v_add_nc_u32_e32 v36, -7, v24
	;; [unrolled: 1-line block ×3, first 2 shown]
	s_mov_b32 s13, -1
	s_delay_alu instid0(VALU_DEP_3) | instskip(SKIP_2) | instid1(VALU_DEP_2)
	v_lshlrev_b64_e32 v[9:10], 4, v[22:23]
	v_add_nc_u32_e32 v22, -5, v24
	s_wait_kmcnt 0x0
	v_add_co_u32 v9, vcc_lo, s2, v9
	s_wait_alu 0xfffd
	s_delay_alu instid0(VALU_DEP_3) | instskip(SKIP_4) | instid1(VALU_DEP_2)
	v_add_co_ci_u32_e64 v10, null, s3, v10, vcc_lo
	s_and_not1_b32 vcc_lo, exec_lo, s1
	global_load_b128 v[25:28], v[9:10], off
	v_mul_lo_u32 v9, 0x90, v20
	v_add_nc_u32_e32 v20, v39, v20
	v_add_nc_u32_e32 v18, v38, v9
	ds_load_b128 v[29:32], v18
	ds_load_b128 v[9:12], v18 offset:16
	s_wait_loadcnt_dscnt 0x1
	v_fma_f64 v[29:30], v[1:2], v[25:26], v[29:30]
	v_fma_f64 v[25:26], v[3:4], v[25:26], v[31:32]
	v_add_nc_u32_e32 v32, -4, v24
	s_delay_alu instid0(VALU_DEP_3) | instskip(NEXT) | instid1(VALU_DEP_3)
	v_fma_f64 v[62:63], -v[3:4], v[27:28], v[29:30]
	v_fma_f64 v[64:65], v[1:2], v[27:28], v[25:26]
	v_add_nc_u32_e32 v28, -2, v24
	v_add_nc_u32_e32 v26, -1, v24
	;; [unrolled: 1-line block ×3, first 2 shown]
	ds_store_b8 v20, v59
	ds_store_b128 v18, v[62:65]
	s_wait_alu 0xfffe
	s_cbranch_vccnz .LBB27_30
; %bb.29:                               ;   in Loop: Header=BB27_25 Depth=2
	v_mov_b32_e32 v29, v23
	v_mov_b32_e32 v37, v23
	v_lshlrev_b64_e32 v[62:63], 4, v[22:23]
	v_mov_b32_e32 v33, v23
	v_mov_b32_e32 v27, v23
	v_lshlrev_b64_e32 v[64:65], 4, v[28:29]
	v_lshlrev_b64_e32 v[70:71], 4, v[36:37]
	v_mov_b32_e32 v35, v23
	v_add_co_u32 v62, vcc_lo, s2, v62
	v_lshlrev_b64_e32 v[72:73], 4, v[32:33]
	v_mov_b32_e32 v31, v23
	s_wait_alu 0xfffd
	v_add_co_ci_u32_e64 v63, null, s3, v63, vcc_lo
	v_add_co_u32 v66, vcc_lo, s2, v64
	v_lshlrev_b64_e32 v[74:75], 4, v[26:27]
	v_mov_b32_e32 v25, v23
	s_wait_alu 0xfffd
	v_add_co_ci_u32_e64 v67, null, s3, v65, vcc_lo
	v_add_co_u32 v70, vcc_lo, s2, v70
	v_lshlrev_b64_e32 v[82:83], 4, v[34:35]
	s_wait_alu 0xfffd
	v_add_co_ci_u32_e64 v71, null, s3, v71, vcc_lo
	v_add_co_u32 v76, vcc_lo, s2, v72
	v_lshlrev_b64_e32 v[84:85], 4, v[30:31]
	s_wait_alu 0xfffd
	v_add_co_ci_u32_e64 v77, null, s3, v73, vcc_lo
	v_add_co_u32 v78, vcc_lo, s2, v74
	v_lshlrev_b64_e32 v[86:87], 4, v[24:25]
	s_wait_alu 0xfffd
	v_add_co_ci_u32_e64 v79, null, s3, v75, vcc_lo
	v_add_co_u32 v82, vcc_lo, s2, v82
	s_wait_alu 0xfffd
	v_add_co_ci_u32_e64 v83, null, s3, v83, vcc_lo
	v_add_co_u32 v88, vcc_lo, s2, v84
	s_clause 0x1
	global_load_b128 v[62:65], v[62:63], off
	global_load_b128 v[66:69], v[66:67], off
	s_wait_alu 0xfffd
	v_add_co_ci_u32_e64 v89, null, s3, v85, vcc_lo
	v_add_co_u32 v90, vcc_lo, s2, v86
	s_clause 0x2
	global_load_b128 v[70:73], v[70:71], off
	global_load_b128 v[74:77], v[76:77], off
	;; [unrolled: 1-line block ×3, first 2 shown]
	s_wait_alu 0xfffd
	v_add_co_ci_u32_e64 v91, null, s3, v87, vcc_lo
	s_clause 0x2
	global_load_b128 v[82:85], v[82:83], off
	global_load_b128 v[86:89], v[88:89], off
	;; [unrolled: 1-line block ×3, first 2 shown]
	ds_load_b128 v[94:97], v18 offset:32
	ds_load_b128 v[98:101], v18 offset:48
	;; [unrolled: 1-line block ×7, first 2 shown]
	s_mov_b32 s13, 0
	s_wait_loadcnt_dscnt 0x709
	v_fma_f64 v[122:123], v[1:2], v[62:63], v[9:10]
	v_fma_f64 v[124:125], v[3:4], v[62:63], v[11:12]
	s_wait_loadcnt_dscnt 0x606
	v_fma_f64 v[94:95], v[1:2], v[66:67], v[94:95]
	v_fma_f64 v[96:97], v[3:4], v[66:67], v[96:97]
	;; [unrolled: 3-line block ×8, first 2 shown]
	v_fma_f64 v[62:63], -v[3:4], v[64:65], v[122:123]
	v_fma_f64 v[64:65], v[1:2], v[64:65], v[124:125]
	v_fma_f64 v[66:67], -v[3:4], v[68:69], v[94:95]
	v_fma_f64 v[68:69], v[1:2], v[68:69], v[96:97]
	;; [unrolled: 2-line block ×8, first 2 shown]
	ds_store_b128 v18, v[62:65] offset:16
	ds_store_b128 v18, v[66:69] offset:32
	;; [unrolled: 1-line block ×8, first 2 shown]
.LBB27_30:                              ;   in Loop: Header=BB27_25 Depth=2
	s_and_not1_b32 vcc_lo, exec_lo, s13
	s_wait_alu 0xfffe
	s_cbranch_vccnz .LBB27_32
; %bb.31:                               ;   in Loop: Header=BB27_25 Depth=2
	v_mov_b32_e32 v37, v23
	v_mov_b32_e32 v35, v23
	;; [unrolled: 1-line block ×4, first 2 shown]
	v_lshlrev_b64_e32 v[66:67], 4, v[22:23]
	v_lshlrev_b64_e32 v[36:37], 4, v[36:37]
	;; [unrolled: 1-line block ×5, first 2 shown]
	v_mov_b32_e32 v29, v23
	v_mov_b32_e32 v27, v23
	v_add_co_u32 v36, vcc_lo, s2, v36
	s_wait_alu 0xfffd
	v_add_co_ci_u32_e64 v37, null, s3, v37, vcc_lo
	v_add_co_u32 v62, vcc_lo, s2, v34
	s_wait_alu 0xfffd
	v_add_co_ci_u32_e64 v63, null, s3, v35, vcc_lo
	s_clause 0x1
	global_load_b128 v[32:35], v[36:37], off
	global_load_b128 v[62:65], v[62:63], off
	v_add_co_u32 v36, vcc_lo, s2, v66
	s_wait_alu 0xfffd
	v_add_co_ci_u32_e64 v37, null, s3, v67, vcc_lo
	v_add_co_u32 v66, vcc_lo, s2, v68
	v_lshlrev_b64_e32 v[74:75], 4, v[28:29]
	s_wait_alu 0xfffd
	v_add_co_ci_u32_e64 v67, null, s3, v69, vcc_lo
	v_add_co_u32 v70, vcc_lo, s2, v30
	s_wait_alu 0xfffd
	v_add_co_ci_u32_e64 v71, null, s3, v31, vcc_lo
	v_mov_b32_e32 v25, v23
	s_clause 0x2
	global_load_b128 v[28:31], v[36:37], off
	global_load_b128 v[66:69], v[66:67], off
	;; [unrolled: 1-line block ×3, first 2 shown]
	v_lshlrev_b64_e32 v[26:27], 4, v[26:27]
	v_add_co_u32 v36, vcc_lo, s2, v74
	s_wait_alu 0xfffd
	v_add_co_ci_u32_e64 v37, null, s3, v75, vcc_lo
	v_lshlrev_b64_e32 v[74:75], 4, v[24:25]
	s_delay_alu instid0(VALU_DEP_4) | instskip(SKIP_2) | instid1(VALU_DEP_3)
	v_add_co_u32 v25, vcc_lo, s2, v26
	s_wait_alu 0xfffd
	v_add_co_ci_u32_e64 v26, null, s3, v27, vcc_lo
	v_add_co_u32 v82, vcc_lo, s2, v74
	s_wait_alu 0xfffd
	v_add_co_ci_u32_e64 v83, null, s3, v75, vcc_lo
	s_clause 0x2
	global_load_b128 v[74:77], v[36:37], off
	global_load_b128 v[78:81], v[25:26], off
	;; [unrolled: 1-line block ×3, first 2 shown]
	ds_load_b128 v[86:89], v18 offset:48
	ds_load_b128 v[90:93], v18 offset:32
	;; [unrolled: 1-line block ×7, first 2 shown]
	s_wait_loadcnt_dscnt 0x709
	v_fma_f64 v[36:37], v[1:2], v[32:33], v[9:10]
	v_fma_f64 v[32:33], v[3:4], v[32:33], v[11:12]
	s_wait_loadcnt_dscnt 0x506
	v_fma_f64 v[25:26], v[1:2], v[28:29], v[86:87]
	v_fma_f64 v[27:28], v[3:4], v[28:29], v[88:89]
	s_wait_dscnt 0x5
	v_fma_f64 v[86:87], v[1:2], v[62:63], v[90:91]
	v_fma_f64 v[62:63], v[3:4], v[62:63], v[92:93]
	s_wait_loadcnt_dscnt 0x404
	v_fma_f64 v[88:89], v[1:2], v[66:67], v[94:95]
	v_fma_f64 v[66:67], v[3:4], v[66:67], v[96:97]
	s_wait_loadcnt_dscnt 0x303
	;; [unrolled: 3-line block ×5, first 2 shown]
	v_fma_f64 v[96:97], v[1:2], v[82:83], v[110:111]
	v_fma_f64 v[82:83], v[3:4], v[82:83], v[112:113]
	v_fma_f64 v[9:10], -v[3:4], v[30:31], v[25:26]
	v_fma_f64 v[11:12], v[1:2], v[30:31], v[27:28]
	v_fma_f64 v[25:26], -v[3:4], v[34:35], v[36:37]
	v_fma_f64 v[27:28], v[1:2], v[34:35], v[32:33]
	v_fma_f64 v[29:30], -v[3:4], v[64:65], v[86:87]
	v_fma_f64 v[31:32], v[1:2], v[64:65], v[62:63]
	v_fma_f64 v[33:34], -v[3:4], v[68:69], v[88:89]
	v_fma_f64 v[35:36], v[1:2], v[68:69], v[66:67]
	v_fma_f64 v[62:63], -v[3:4], v[72:73], v[90:91]
	v_fma_f64 v[64:65], v[1:2], v[72:73], v[70:71]
	v_fma_f64 v[66:67], -v[3:4], v[76:77], v[92:93]
	v_fma_f64 v[68:69], v[1:2], v[76:77], v[74:75]
	v_fma_f64 v[70:71], -v[3:4], v[80:81], v[94:95]
	v_fma_f64 v[72:73], v[1:2], v[80:81], v[78:79]
	v_fma_f64 v[74:75], -v[3:4], v[84:85], v[96:97]
	v_fma_f64 v[76:77], v[1:2], v[84:85], v[82:83]
	ds_store_b128 v18, v[25:28] offset:16
	ds_store_b128 v18, v[29:32] offset:32
	;; [unrolled: 1-line block ×8, first 2 shown]
.LBB27_32:                              ;   in Loop: Header=BB27_25 Depth=2
	s_or_b32 exec_lo, exec_lo, s12
	s_mov_b32 s12, -1
	s_and_saveexec_b32 s13, s0
	s_cbranch_execz .LBB27_24
; %bb.33:                               ;   in Loop: Header=BB27_25 Depth=2
	v_add_nc_u32_e32 v19, 64, v19
	v_add_nc_u32_e32 v24, 0x240, v24
	s_delay_alu instid0(VALU_DEP_2)
	v_cmp_ge_i32_e32 vcc_lo, v19, v40
	s_or_not1_b32 s12, vcc_lo, exec_lo
	s_branch .LBB27_24
.LBB27_34:                              ;   in Loop: Header=BB27_9 Depth=1
	s_or_b32 exec_lo, exec_lo, s7
.LBB27_35:                              ;   in Loop: Header=BB27_9 Depth=1
	s_wait_alu 0xfffe
	s_or_b32 exec_lo, exec_lo, s6
	s_wait_loadcnt_dscnt 0x0
	global_inv scope:SCOPE_SE
	ds_load_u8 v9, v58
	s_mov_b32 s6, exec_lo
	s_wait_dscnt 0x0
	v_and_b32_e32 v10, 1, v9
	v_cmp_ne_u16_e32 vcc_lo, 0, v9
	s_delay_alu instid0(VALU_DEP_2)
	v_cmpx_eq_u32_e32 1, v10
	s_cbranch_execz .LBB27_8
; %bb.36:                               ;   in Loop: Header=BB27_9 Depth=1
	s_wait_alu 0xfffd
	v_dual_mov_b32 v26, v23 :: v_dual_and_b32 v9, vcc_lo, v21
	v_add_nc_u32_e32 v18, v43, v61
	s_delay_alu instid0(VALU_DEP_2) | instskip(NEXT) | instid1(VALU_DEP_1)
	v_bcnt_u32_b32 v9, v9, 0
	v_add3_u32 v24, v41, v9, -1
	ds_load_2addr_b64 v[9:12], v42 offset1:1
	v_ashrrev_i32_e32 v25, 31, v24
	v_lshl_add_u32 v22, v24, 3, v24
	v_mov_b32_e32 v28, v23
	v_mov_b32_e32 v30, v23
	s_delay_alu instid0(VALU_DEP_4) | instskip(NEXT) | instid1(VALU_DEP_4)
	v_lshlrev_b64_e32 v[31:32], 2, v[24:25]
	v_add_nc_u32_e32 v25, 1, v22
	v_lshlrev_b64_e32 v[33:34], 4, v[22:23]
	v_add_nc_u32_e32 v27, 2, v22
	v_add_nc_u32_e32 v29, 3, v22
	;; [unrolled: 1-line block ×3, first 2 shown]
	v_lshlrev_b64_e32 v[25:26], 4, v[25:26]
	s_wait_kmcnt 0x0
	v_add_co_u32 v31, s0, s16, v31
	s_wait_alu 0xf1ff
	v_add_co_ci_u32_e64 v32, null, s17, v32, s0
	v_add_co_u32 v36, s0, s18, v33
	s_wait_alu 0xf1ff
	v_add_co_ci_u32_e64 v37, null, s19, v34, s0
	v_add_co_u32 v81, s0, s18, v25
	v_mov_b32_e32 v25, v23
	v_lshlrev_b64_e32 v[27:28], 4, v[27:28]
	v_lshlrev_b64_e32 v[29:30], 4, v[29:30]
	s_wait_alu 0xf1ff
	v_add_co_ci_u32_e64 v82, null, s19, v26, s0
	v_lshlrev_b64_e32 v[24:25], 4, v[24:25]
	v_add_nc_u32_e32 v26, 5, v22
	v_add_co_u32 v83, s0, s18, v27
	v_mov_b32_e32 v27, v23
	s_wait_alu 0xf1ff
	v_add_co_ci_u32_e64 v84, null, s19, v28, s0
	v_add_co_u32 v85, s0, s18, v29
	s_wait_alu 0xf1ff
	v_add_co_ci_u32_e64 v86, null, s19, v30, s0
	v_add_co_u32 v87, s0, s18, v24
	s_wait_alu 0xf1ff
	v_add_co_ci_u32_e64 v88, null, s19, v25, s0
	v_lshlrev_b64_e32 v[24:25], 4, v[26:27]
	v_dual_mov_b32 v29, v23 :: v_dual_add_nc_u32 v26, 6, v22
	v_add_nc_u32_e32 v28, 7, v22
	global_store_b32 v[31:32], v18, off
	v_add_nc_u32_e32 v22, 8, v22
	v_add_co_u32 v89, s0, s18, v24
	s_wait_alu 0xf1ff
	v_add_co_ci_u32_e64 v90, null, s19, v25, s0
	v_lshlrev_b64_e32 v[91:92], 4, v[26:27]
	v_lshlrev_b64_e32 v[93:94], 4, v[28:29]
	ds_load_2addr_b64 v[24:27], v52 offset1:1
	ds_load_2addr_b64 v[28:31], v53 offset1:1
	ds_load_2addr_b64 v[32:35], v54 offset1:1
	ds_load_2addr_b64 v[61:64], v45 offset1:1
	ds_load_2addr_b64 v[65:68], v55 offset1:1
	ds_load_2addr_b64 v[69:72], v56 offset1:1
	ds_load_2addr_b64 v[73:76], v57 offset1:1
	ds_load_2addr_b64 v[77:80], v46 offset1:1
	v_lshlrev_b64_e32 v[95:96], 4, v[22:23]
	v_add_co_u32 v91, s0, s18, v91
	s_wait_alu 0xf1ff
	v_add_co_ci_u32_e64 v92, null, s19, v92, s0
	v_add_co_u32 v93, s0, s18, v93
	s_wait_alu 0xf1ff
	v_add_co_ci_u32_e64 v94, null, s19, v94, s0
	;; [unrolled: 3-line block ×3, first 2 shown]
	s_wait_dscnt 0x8
	global_store_b128 v[36:37], v[9:12], off
	s_wait_dscnt 0x7
	global_store_b128 v[81:82], v[24:27], off
	;; [unrolled: 2-line block ×9, first 2 shown]
	s_branch .LBB27_8
.LBB27_37:
	s_endpgm
	.section	.rodata,"a",@progbits
	.p2align	6, 0x0
	.amdhsa_kernel _ZN9rocsparseL39bsrgeam_wf_per_row_multipass_2_3_kernelILj256ELj3ELj64E21rocsparse_complex_numIdEEEv20rocsparse_direction_iiiNS_24const_host_device_scalarIT2_EEPKiS8_PKS5_S6_S8_S8_SA_S8_PiPS5_21rocsparse_index_base_SD_SD_b
		.amdhsa_group_segment_fixed_size 37120
		.amdhsa_private_segment_fixed_size 16
		.amdhsa_kernarg_size 136
		.amdhsa_user_sgpr_count 2
		.amdhsa_user_sgpr_dispatch_ptr 0
		.amdhsa_user_sgpr_queue_ptr 0
		.amdhsa_user_sgpr_kernarg_segment_ptr 1
		.amdhsa_user_sgpr_dispatch_id 0
		.amdhsa_user_sgpr_private_segment_size 0
		.amdhsa_wavefront_size32 1
		.amdhsa_uses_dynamic_stack 0
		.amdhsa_enable_private_segment 1
		.amdhsa_system_sgpr_workgroup_id_x 1
		.amdhsa_system_sgpr_workgroup_id_y 0
		.amdhsa_system_sgpr_workgroup_id_z 0
		.amdhsa_system_sgpr_workgroup_info 0
		.amdhsa_system_vgpr_workitem_id 0
		.amdhsa_next_free_vgpr 217
		.amdhsa_next_free_sgpr 27
		.amdhsa_reserve_vcc 1
		.amdhsa_float_round_mode_32 0
		.amdhsa_float_round_mode_16_64 0
		.amdhsa_float_denorm_mode_32 3
		.amdhsa_float_denorm_mode_16_64 3
		.amdhsa_fp16_overflow 0
		.amdhsa_workgroup_processor_mode 1
		.amdhsa_memory_ordered 1
		.amdhsa_forward_progress 1
		.amdhsa_inst_pref_size 42
		.amdhsa_round_robin_scheduling 0
		.amdhsa_exception_fp_ieee_invalid_op 0
		.amdhsa_exception_fp_denorm_src 0
		.amdhsa_exception_fp_ieee_div_zero 0
		.amdhsa_exception_fp_ieee_overflow 0
		.amdhsa_exception_fp_ieee_underflow 0
		.amdhsa_exception_fp_ieee_inexact 0
		.amdhsa_exception_int_div_zero 0
	.end_amdhsa_kernel
	.section	.text._ZN9rocsparseL39bsrgeam_wf_per_row_multipass_2_3_kernelILj256ELj3ELj64E21rocsparse_complex_numIdEEEv20rocsparse_direction_iiiNS_24const_host_device_scalarIT2_EEPKiS8_PKS5_S6_S8_S8_SA_S8_PiPS5_21rocsparse_index_base_SD_SD_b,"axG",@progbits,_ZN9rocsparseL39bsrgeam_wf_per_row_multipass_2_3_kernelILj256ELj3ELj64E21rocsparse_complex_numIdEEEv20rocsparse_direction_iiiNS_24const_host_device_scalarIT2_EEPKiS8_PKS5_S6_S8_S8_SA_S8_PiPS5_21rocsparse_index_base_SD_SD_b,comdat
.Lfunc_end27:
	.size	_ZN9rocsparseL39bsrgeam_wf_per_row_multipass_2_3_kernelILj256ELj3ELj64E21rocsparse_complex_numIdEEEv20rocsparse_direction_iiiNS_24const_host_device_scalarIT2_EEPKiS8_PKS5_S6_S8_S8_SA_S8_PiPS5_21rocsparse_index_base_SD_SD_b, .Lfunc_end27-_ZN9rocsparseL39bsrgeam_wf_per_row_multipass_2_3_kernelILj256ELj3ELj64E21rocsparse_complex_numIdEEEv20rocsparse_direction_iiiNS_24const_host_device_scalarIT2_EEPKiS8_PKS5_S6_S8_S8_SA_S8_PiPS5_21rocsparse_index_base_SD_SD_b
                                        ; -- End function
	.set _ZN9rocsparseL39bsrgeam_wf_per_row_multipass_2_3_kernelILj256ELj3ELj64E21rocsparse_complex_numIdEEEv20rocsparse_direction_iiiNS_24const_host_device_scalarIT2_EEPKiS8_PKS5_S6_S8_S8_SA_S8_PiPS5_21rocsparse_index_base_SD_SD_b.num_vgpr, 126
	.set _ZN9rocsparseL39bsrgeam_wf_per_row_multipass_2_3_kernelILj256ELj3ELj64E21rocsparse_complex_numIdEEEv20rocsparse_direction_iiiNS_24const_host_device_scalarIT2_EEPKiS8_PKS5_S6_S8_S8_SA_S8_PiPS5_21rocsparse_index_base_SD_SD_b.num_agpr, 0
	.set _ZN9rocsparseL39bsrgeam_wf_per_row_multipass_2_3_kernelILj256ELj3ELj64E21rocsparse_complex_numIdEEEv20rocsparse_direction_iiiNS_24const_host_device_scalarIT2_EEPKiS8_PKS5_S6_S8_S8_SA_S8_PiPS5_21rocsparse_index_base_SD_SD_b.numbered_sgpr, 27
	.set _ZN9rocsparseL39bsrgeam_wf_per_row_multipass_2_3_kernelILj256ELj3ELj64E21rocsparse_complex_numIdEEEv20rocsparse_direction_iiiNS_24const_host_device_scalarIT2_EEPKiS8_PKS5_S6_S8_S8_SA_S8_PiPS5_21rocsparse_index_base_SD_SD_b.num_named_barrier, 0
	.set _ZN9rocsparseL39bsrgeam_wf_per_row_multipass_2_3_kernelILj256ELj3ELj64E21rocsparse_complex_numIdEEEv20rocsparse_direction_iiiNS_24const_host_device_scalarIT2_EEPKiS8_PKS5_S6_S8_S8_SA_S8_PiPS5_21rocsparse_index_base_SD_SD_b.private_seg_size, 16
	.set _ZN9rocsparseL39bsrgeam_wf_per_row_multipass_2_3_kernelILj256ELj3ELj64E21rocsparse_complex_numIdEEEv20rocsparse_direction_iiiNS_24const_host_device_scalarIT2_EEPKiS8_PKS5_S6_S8_S8_SA_S8_PiPS5_21rocsparse_index_base_SD_SD_b.uses_vcc, 1
	.set _ZN9rocsparseL39bsrgeam_wf_per_row_multipass_2_3_kernelILj256ELj3ELj64E21rocsparse_complex_numIdEEEv20rocsparse_direction_iiiNS_24const_host_device_scalarIT2_EEPKiS8_PKS5_S6_S8_S8_SA_S8_PiPS5_21rocsparse_index_base_SD_SD_b.uses_flat_scratch, 0
	.set _ZN9rocsparseL39bsrgeam_wf_per_row_multipass_2_3_kernelILj256ELj3ELj64E21rocsparse_complex_numIdEEEv20rocsparse_direction_iiiNS_24const_host_device_scalarIT2_EEPKiS8_PKS5_S6_S8_S8_SA_S8_PiPS5_21rocsparse_index_base_SD_SD_b.has_dyn_sized_stack, 0
	.set _ZN9rocsparseL39bsrgeam_wf_per_row_multipass_2_3_kernelILj256ELj3ELj64E21rocsparse_complex_numIdEEEv20rocsparse_direction_iiiNS_24const_host_device_scalarIT2_EEPKiS8_PKS5_S6_S8_S8_SA_S8_PiPS5_21rocsparse_index_base_SD_SD_b.has_recursion, 0
	.set _ZN9rocsparseL39bsrgeam_wf_per_row_multipass_2_3_kernelILj256ELj3ELj64E21rocsparse_complex_numIdEEEv20rocsparse_direction_iiiNS_24const_host_device_scalarIT2_EEPKiS8_PKS5_S6_S8_S8_SA_S8_PiPS5_21rocsparse_index_base_SD_SD_b.has_indirect_call, 0
	.section	.AMDGPU.csdata,"",@progbits
; Kernel info:
; codeLenInByte = 5376
; TotalNumSgprs: 29
; NumVgprs: 126
; ScratchSize: 16
; MemoryBound: 0
; FloatMode: 240
; IeeeMode: 1
; LDSByteSize: 37120 bytes/workgroup (compile time only)
; SGPRBlocks: 0
; VGPRBlocks: 27
; NumSGPRsForWavesPerEU: 29
; NumVGPRsForWavesPerEU: 217
; Occupancy: 6
; WaveLimiterHint : 1
; COMPUTE_PGM_RSRC2:SCRATCH_EN: 1
; COMPUTE_PGM_RSRC2:USER_SGPR: 2
; COMPUTE_PGM_RSRC2:TRAP_HANDLER: 0
; COMPUTE_PGM_RSRC2:TGID_X_EN: 1
; COMPUTE_PGM_RSRC2:TGID_Y_EN: 0
; COMPUTE_PGM_RSRC2:TGID_Z_EN: 0
; COMPUTE_PGM_RSRC2:TIDIG_COMP_CNT: 0
	.section	.text._ZN9rocsparseL35bsrgeam_wf_per_row_multipass_kernelILj64ELj4E21rocsparse_complex_numIdEEEv20rocsparse_direction_iiiNS_24const_host_device_scalarIT1_EEPKiS8_PKS5_S6_S8_S8_SA_S8_PiPS5_21rocsparse_index_base_SD_SD_b,"axG",@progbits,_ZN9rocsparseL35bsrgeam_wf_per_row_multipass_kernelILj64ELj4E21rocsparse_complex_numIdEEEv20rocsparse_direction_iiiNS_24const_host_device_scalarIT1_EEPKiS8_PKS5_S6_S8_S8_SA_S8_PiPS5_21rocsparse_index_base_SD_SD_b,comdat
	.globl	_ZN9rocsparseL35bsrgeam_wf_per_row_multipass_kernelILj64ELj4E21rocsparse_complex_numIdEEEv20rocsparse_direction_iiiNS_24const_host_device_scalarIT1_EEPKiS8_PKS5_S6_S8_S8_SA_S8_PiPS5_21rocsparse_index_base_SD_SD_b ; -- Begin function _ZN9rocsparseL35bsrgeam_wf_per_row_multipass_kernelILj64ELj4E21rocsparse_complex_numIdEEEv20rocsparse_direction_iiiNS_24const_host_device_scalarIT1_EEPKiS8_PKS5_S6_S8_S8_SA_S8_PiPS5_21rocsparse_index_base_SD_SD_b
	.p2align	8
	.type	_ZN9rocsparseL35bsrgeam_wf_per_row_multipass_kernelILj64ELj4E21rocsparse_complex_numIdEEEv20rocsparse_direction_iiiNS_24const_host_device_scalarIT1_EEPKiS8_PKS5_S6_S8_S8_SA_S8_PiPS5_21rocsparse_index_base_SD_SD_b,@function
_ZN9rocsparseL35bsrgeam_wf_per_row_multipass_kernelILj64ELj4E21rocsparse_complex_numIdEEEv20rocsparse_direction_iiiNS_24const_host_device_scalarIT1_EEPKiS8_PKS5_S6_S8_S8_SA_S8_PiPS5_21rocsparse_index_base_SD_SD_b: ; @_ZN9rocsparseL35bsrgeam_wf_per_row_multipass_kernelILj64ELj4E21rocsparse_complex_numIdEEEv20rocsparse_direction_iiiNS_24const_host_device_scalarIT1_EEPKiS8_PKS5_S6_S8_S8_SA_S8_PiPS5_21rocsparse_index_base_SD_SD_b
; %bb.0:
	s_clause 0x1
	s_load_b128 s[4:7], s[0:1], 0x78
	s_load_b128 s[8:11], s[0:1], 0x10
	s_mov_b64 s[2:3], src_private_base
	s_load_b64 s[12:13], s[0:1], 0x20
	s_wait_kmcnt 0x0
	s_bitcmp1_b32 s7, 0
	v_dual_mov_b32 v1, s8 :: v_dual_mov_b32 v2, s9
	s_cselect_b32 s2, -1, 0
	v_dual_mov_b32 v12, s11 :: v_dual_mov_b32 v11, s10
	s_and_b32 vcc_lo, s2, exec_lo
	s_cselect_b32 s7, 0, s8
	s_cselect_b32 s3, s3, s9
	s_delay_alu instid0(SALU_CYCLE_1)
	v_dual_mov_b32 v3, s7 :: v_dual_mov_b32 v4, s3
	scratch_store_b64 off, v[1:2], off
	flat_load_b64 v[9:10], v[3:4]
	s_cbranch_vccnz .LBB28_2
; %bb.1:
	v_dual_mov_b32 v1, s8 :: v_dual_mov_b32 v2, s9
	flat_load_b64 v[11:12], v[1:2] offset:8
.LBB28_2:
	s_load_b64 s[8:9], s[0:1], 0x38
	s_add_nc_u64 s[10:11], s[0:1], 56
	s_and_b32 s2, s2, exec_lo
	v_lshrrev_b32_e32 v7, 4, v0
	v_dual_mov_b32 v26, 0 :: v_dual_mov_b32 v13, 0
	s_delay_alu instid0(VALU_DEP_2) | instskip(NEXT) | instid1(VALU_DEP_1)
	v_lshl_or_b32 v5, ttmp9, 2, v7
	v_ashrrev_i32_e32 v6, 31, v5
	s_wait_kmcnt 0x0
	s_wait_alu 0xfffe
	s_cselect_b32 s2, s10, s8
	s_cselect_b32 s3, s11, s9
	s_wait_alu 0xfffe
	v_dual_mov_b32 v1, s2 :: v_dual_mov_b32 v2, s3
	s_load_b128 s[8:11], s[0:1], 0x0
	flat_load_b128 v[1:4], v[1:2]
	s_wait_kmcnt 0x0
	v_cmp_gt_i32_e64 s2, s9, v5
	v_cmp_le_i32_e32 vcc_lo, s9, v5
	s_and_saveexec_b32 s7, s2
	s_cbranch_execz .LBB28_4
; %bb.3:
	v_lshlrev_b64_e32 v[13:14], 2, v[5:6]
	s_delay_alu instid0(VALU_DEP_1) | instskip(SKIP_1) | instid1(VALU_DEP_2)
	v_add_co_u32 v13, s3, s12, v13
	s_wait_alu 0xf1ff
	v_add_co_ci_u32_e64 v14, null, s13, v14, s3
	global_load_b32 v8, v[13:14], off
	s_wait_loadcnt 0x0
	v_subrev_nc_u32_e32 v13, s4, v8
.LBB28_4:
	s_wait_alu 0xfffe
	s_or_b32 exec_lo, exec_lo, s7
	s_load_b64 s[14:15], s[0:1], 0x48
	s_and_saveexec_b32 s7, s2
	s_cbranch_execz .LBB28_6
; %bb.5:
	v_lshlrev_b64_e32 v[14:15], 2, v[5:6]
	s_delay_alu instid0(VALU_DEP_1) | instskip(SKIP_1) | instid1(VALU_DEP_2)
	v_add_co_u32 v14, s3, s12, v14
	s_wait_alu 0xf1ff
	v_add_co_ci_u32_e64 v15, null, s13, v15, s3
	global_load_b32 v8, v[14:15], off offset:4
	s_wait_loadcnt 0x0
	v_subrev_nc_u32_e32 v26, s4, v8
.LBB28_6:
	s_wait_alu 0xfffe
	s_or_b32 exec_lo, exec_lo, s7
	v_mov_b32_e32 v27, 0
	v_mov_b32_e32 v15, 0
	s_and_saveexec_b32 s7, s2
	s_cbranch_execz .LBB28_8
; %bb.7:
	v_lshlrev_b64_e32 v[14:15], 2, v[5:6]
	s_wait_kmcnt 0x0
	s_delay_alu instid0(VALU_DEP_1) | instskip(SKIP_1) | instid1(VALU_DEP_2)
	v_add_co_u32 v14, s3, s14, v14
	s_wait_alu 0xf1ff
	v_add_co_ci_u32_e64 v15, null, s15, v15, s3
	global_load_b32 v8, v[14:15], off
	s_wait_loadcnt 0x0
	v_subrev_nc_u32_e32 v15, s5, v8
.LBB28_8:
	s_wait_alu 0xfffe
	s_or_b32 exec_lo, exec_lo, s7
	s_and_saveexec_b32 s7, s2
	s_cbranch_execz .LBB28_10
; %bb.9:
	v_lshlrev_b64_e32 v[16:17], 2, v[5:6]
	s_wait_kmcnt 0x0
	s_delay_alu instid0(VALU_DEP_1) | instskip(SKIP_1) | instid1(VALU_DEP_2)
	v_add_co_u32 v16, s3, s14, v16
	s_wait_alu 0xf1ff
	v_add_co_ci_u32_e64 v17, null, s15, v17, s3
	global_load_b32 v8, v[16:17], off offset:4
	s_wait_loadcnt 0x0
	v_subrev_nc_u32_e32 v27, s5, v8
.LBB28_10:
	s_wait_alu 0xfffe
	s_or_b32 exec_lo, exec_lo, s7
	s_load_b64 s[16:17], s[0:1], 0x28
	v_mov_b32_e32 v17, 0
	s_and_saveexec_b32 s3, s2
	s_cbranch_execz .LBB28_12
; %bb.11:
	s_load_b64 s[12:13], s[0:1], 0x60
	v_lshlrev_b64_e32 v[5:6], 2, v[5:6]
	s_wait_kmcnt 0x0
	s_delay_alu instid0(VALU_DEP_1) | instskip(SKIP_1) | instid1(VALU_DEP_2)
	v_add_co_u32 v5, s2, s12, v5
	s_wait_alu 0xf1ff
	v_add_co_ci_u32_e64 v6, null, s13, v6, s2
	global_load_b32 v5, v[5:6], off
	s_wait_loadcnt 0x0
	v_subrev_nc_u32_e32 v17, s6, v5
.LBB28_12:
	s_wait_alu 0xfffe
	s_or_b32 exec_lo, exec_lo, s3
	s_load_b64 s[18:19], s[0:1], 0x50
	v_mov_b32_e32 v6, s10
	s_mov_b32 s3, exec_lo
	v_cmpx_lt_i32_e64 v13, v26
	s_cbranch_execz .LBB28_14
; %bb.13:
	v_ashrrev_i32_e32 v14, 31, v13
	s_delay_alu instid0(VALU_DEP_1) | instskip(SKIP_1) | instid1(VALU_DEP_1)
	v_lshlrev_b64_e32 v[5:6], 2, v[13:14]
	s_wait_kmcnt 0x0
	v_add_co_u32 v5, s2, s16, v5
	s_wait_alu 0xf1ff
	s_delay_alu instid0(VALU_DEP_2)
	v_add_co_ci_u32_e64 v6, null, s17, v6, s2
	global_load_b32 v5, v[5:6], off
	s_wait_loadcnt 0x0
	v_subrev_nc_u32_e32 v6, s4, v5
.LBB28_14:
	s_wait_alu 0xfffe
	s_or_b32 exec_lo, exec_lo, s3
	v_mov_b32_e32 v8, s10
	s_mov_b32 s3, exec_lo
	v_cmpx_lt_i32_e64 v15, v27
	s_cbranch_execz .LBB28_16
; %bb.15:
	v_ashrrev_i32_e32 v16, 31, v15
	s_delay_alu instid0(VALU_DEP_1) | instskip(SKIP_1) | instid1(VALU_DEP_1)
	v_lshlrev_b64_e32 v[18:19], 2, v[15:16]
	s_wait_kmcnt 0x0
	v_add_co_u32 v18, s2, s18, v18
	s_wait_alu 0xf1ff
	s_delay_alu instid0(VALU_DEP_2)
	v_add_co_ci_u32_e64 v19, null, s19, v19, s2
	global_load_b32 v5, v[18:19], off
	s_wait_loadcnt 0x0
	v_subrev_nc_u32_e32 v8, s5, v5
.LBB28_16:
	s_wait_alu 0xfffe
	s_or_b32 exec_lo, exec_lo, s3
	v_cndmask_b32_e64 v16, 0, 1, vcc_lo
	v_dual_mov_b32 v5, 0 :: v_dual_lshlrev_b32 v14, 2, v7
	ds_store_b32 v14, v16 offset:1024
	s_wait_storecnt 0x0
	s_wait_loadcnt_dscnt 0x0
	s_barrier_signal -1
	s_barrier_wait -1
	global_inv scope:SCOPE_SE
	ds_load_b32 v16, v5 offset:1024
	s_wait_dscnt 0x0
	v_cmp_lt_u32_e32 vcc_lo, 3, v16
	s_cbranch_vccnz .LBB28_56
; %bb.17:
	s_wait_kmcnt 0x0
	s_clause 0x2
	s_load_b128 s[12:15], s[0:1], 0x68
	s_load_b64 s[20:21], s[0:1], 0x58
	s_load_b64 s[22:23], s[0:1], 0x30
	v_and_b32_e32 v19, 3, v0
	v_bfe_u32 v20, v0, 2, 2
	v_min_i32_e32 v36, v8, v6
	v_and_b32_e32 v6, 48, v0
	s_cmp_lg_u32 s8, 0
	v_or_b32_e32 v28, 0x400, v14
	s_cselect_b32 s7, -1, 0
	s_cmp_eq_u32 s8, 0
	v_lshlrev_b32_e32 v8, 6, v20
	v_lshlrev_b32_e32 v14, 4, v19
	;; [unrolled: 1-line block ×4, first 2 shown]
	s_cselect_b32 vcc_lo, -1, 0
	v_lshlrev_b32_e32 v6, 4, v6
	v_lshl_or_b32 v29, v7, 2, 0x410
	v_dual_mov_b32 v35, 1 :: v_dual_lshlrev_b32 v30, 4, v0
	v_cmp_gt_u32_e64 s1, 2, v0
	s_delay_alu instid0(VALU_DEP_4)
	v_or3_b32 v31, v6, v8, v14
	v_or3_b32 v32, v6, v16, v18
	v_mov_b32_e32 v6, v5
	v_max_i32_e32 v7, v20, v19
	v_lshl_or_b32 v33, v0, 2, 0x400
	v_cmp_eq_u32_e64 s2, 0, v0
	s_wait_alu 0xfffe
	v_dual_cndmask_b32 v0, v20, v19 :: v_dual_cndmask_b32 v21, v19, v20
	v_cmp_gt_i32_e64 s0, s11, v7
	v_dual_cndmask_b32 v34, v31, v32 :: v_dual_mov_b32 v7, v5
	v_mov_b32_e32 v8, v5
	s_mul_i32 s8, s11, s11
	s_branch .LBB28_19
.LBB28_18:                              ;   in Loop: Header=BB28_19 Depth=1
	s_wait_alu 0xfffe
	s_or_b32 exec_lo, exec_lo, s3
	s_wait_loadcnt_dscnt 0x0
	s_barrier_signal -1
	s_barrier_wait -1
	global_inv scope:SCOPE_SE
	ds_load_b32 v16, v5 offset:1024
	v_dual_mov_b32 v36, v14 :: v_dual_add_nc_u32 v17, 1, v17
	s_wait_dscnt 0x0
	v_cmp_gt_u32_e32 vcc_lo, 4, v16
	s_cbranch_vccz .LBB28_56
.LBB28_19:                              ; =>This Loop Header: Depth=1
                                        ;     Child Loop BB28_22 Depth 2
                                        ;     Child Loop BB28_37 Depth 2
	v_mov_b32_e32 v14, s10
	s_mov_b32 s9, exec_lo
	ds_store_b32 v29, v5
	ds_store_b128 v30, v[5:8]
	s_wait_loadcnt_dscnt 0x0
	s_barrier_signal -1
	s_barrier_wait -1
	global_inv scope:SCOPE_SE
	v_cmpx_lt_i32_e64 v13, v26
	s_cbranch_execz .LBB28_34
; %bb.20:                               ;   in Loop: Header=BB28_19 Depth=1
	v_mul_lo_u32 v16, s11, v13
	v_ashrrev_i32_e32 v14, 31, v13
	s_mov_b32 s24, 0
	s_delay_alu instid0(VALU_DEP_1) | instskip(SKIP_1) | instid1(VALU_DEP_4)
	v_lshlrev_b64_e32 v[37:38], 2, v[13:14]
	v_mov_b32_e32 v14, s10
	v_add_nc_u32_e32 v18, v19, v16
	v_add_nc_u32_e32 v16, v20, v16
	s_delay_alu instid0(VALU_DEP_2) | instskip(NEXT) | instid1(VALU_DEP_2)
	v_mad_co_u64_u32 v[22:23], null, s11, v18, v[20:21]
	v_mad_co_u64_u32 v[23:24], null, s11, v16, v[19:20]
	v_add_co_u32 v24, vcc_lo, s16, v37
	s_wait_alu 0xfffd
	v_add_co_ci_u32_e64 v25, null, s17, v38, vcc_lo
	v_mov_b32_e32 v16, 0
	s_branch .LBB28_22
.LBB28_21:                              ;   in Loop: Header=BB28_22 Depth=2
	s_or_b32 exec_lo, exec_lo, s25
	v_mov_b32_e32 v37, v13
	v_mov_b32_e32 v13, v18
	s_and_b32 s3, exec_lo, s26
	s_wait_alu 0xfffe
	s_or_b32 s24, s3, s24
	s_delay_alu instid0(SALU_CYCLE_1)
	s_and_not1_b32 exec_lo, exec_lo, s24
	s_cbranch_execz .LBB28_33
.LBB28_22:                              ;   Parent Loop BB28_19 Depth=1
                                        ; =>  This Inner Loop Header: Depth=2
	global_load_b32 v18, v[24:25], off
	s_wait_loadcnt 0x0
	v_subrev_nc_u32_e32 v18, s4, v18
	s_delay_alu instid0(VALU_DEP_1) | instskip(SKIP_1) | instid1(SALU_CYCLE_1)
	v_cmp_le_i32_e64 s3, v18, v36
	s_and_saveexec_b32 s25, s3
	s_xor_b32 s25, exec_lo, s25
	s_cbranch_execz .LBB28_29
; %bb.23:                               ;   in Loop: Header=BB28_22 Depth=2
	ds_store_b32 v29, v35
	s_and_saveexec_b32 s26, s0
	s_cbranch_execz .LBB28_28
; %bb.24:                               ;   in Loop: Header=BB28_22 Depth=2
	s_and_b32 vcc_lo, exec_lo, s7
	s_mov_b32 s27, -1
	s_wait_alu 0xfffe
	s_cbranch_vccz .LBB28_26
; %bb.25:                               ;   in Loop: Header=BB28_22 Depth=2
	v_add_nc_u32_e32 v37, v23, v16
	s_mov_b32 s27, 0
	s_delay_alu instid0(VALU_DEP_1) | instskip(NEXT) | instid1(VALU_DEP_1)
	v_ashrrev_i32_e32 v38, 31, v37
	v_lshlrev_b64_e32 v[37:38], 4, v[37:38]
	s_wait_kmcnt 0x0
	s_delay_alu instid0(VALU_DEP_1) | instskip(SKIP_1) | instid1(VALU_DEP_2)
	v_add_co_u32 v37, vcc_lo, s22, v37
	s_wait_alu 0xfffd
	v_add_co_ci_u32_e64 v38, null, s23, v38, vcc_lo
	global_load_b128 v[37:40], v[37:38], off
	s_wait_loadcnt 0x0
	v_mul_f64_e64 v[41:42], v[39:40], -v[11:12]
	v_mul_f64_e32 v[43:44], v[9:10], v[39:40]
	s_delay_alu instid0(VALU_DEP_2) | instskip(NEXT) | instid1(VALU_DEP_2)
	v_fma_f64 v[39:40], v[9:10], v[37:38], v[41:42]
	v_fma_f64 v[41:42], v[11:12], v[37:38], v[43:44]
	ds_store_b128 v31, v[39:42]
.LBB28_26:                              ;   in Loop: Header=BB28_22 Depth=2
	s_and_not1_b32 vcc_lo, exec_lo, s27
	s_wait_alu 0xfffe
	s_cbranch_vccnz .LBB28_28
; %bb.27:                               ;   in Loop: Header=BB28_22 Depth=2
	v_add_nc_u32_e32 v37, v22, v16
	s_delay_alu instid0(VALU_DEP_1) | instskip(NEXT) | instid1(VALU_DEP_1)
	v_ashrrev_i32_e32 v38, 31, v37
	v_lshlrev_b64_e32 v[37:38], 4, v[37:38]
	s_wait_kmcnt 0x0
	s_delay_alu instid0(VALU_DEP_1) | instskip(SKIP_1) | instid1(VALU_DEP_2)
	v_add_co_u32 v37, vcc_lo, s22, v37
	s_wait_alu 0xfffd
	v_add_co_ci_u32_e64 v38, null, s23, v38, vcc_lo
	global_load_b128 v[37:40], v[37:38], off
	s_wait_loadcnt 0x0
	v_mul_f64_e64 v[41:42], v[39:40], -v[11:12]
	v_mul_f64_e32 v[43:44], v[9:10], v[39:40]
	s_delay_alu instid0(VALU_DEP_2) | instskip(NEXT) | instid1(VALU_DEP_2)
	v_fma_f64 v[39:40], v[9:10], v[37:38], v[41:42]
	v_fma_f64 v[41:42], v[11:12], v[37:38], v[43:44]
	ds_store_b128 v32, v[39:42]
.LBB28_28:                              ;   in Loop: Header=BB28_22 Depth=2
	s_or_b32 exec_lo, exec_lo, s26
                                        ; implicit-def: $vgpr18
	s_and_not1_saveexec_b32 s25, s25
	s_branch .LBB28_30
.LBB28_29:                              ;   in Loop: Header=BB28_22 Depth=2
	s_and_not1_saveexec_b32 s25, s25
.LBB28_30:                              ;   in Loop: Header=BB28_22 Depth=2
	v_min_i32_e32 v14, v18, v14
; %bb.31:                               ;   in Loop: Header=BB28_22 Depth=2
	s_or_b32 exec_lo, exec_lo, s25
	s_mov_b32 s26, -1
                                        ; implicit-def: $vgpr18
	s_and_saveexec_b32 s25, s3
	s_cbranch_execz .LBB28_21
; %bb.32:                               ;   in Loop: Header=BB28_22 Depth=2
	v_dual_mov_b32 v13, v26 :: v_dual_add_nc_u32 v18, 1, v13
	v_add_co_u32 v24, s3, v24, 4
	s_wait_alu 0xfffe
	v_add_nc_u32_e32 v16, s8, v16
	s_delay_alu instid0(VALU_DEP_3)
	v_cmp_ge_i32_e32 vcc_lo, v18, v26
	s_wait_alu 0xf1ff
	v_add_co_ci_u32_e64 v25, null, 0, v25, s3
	s_or_not1_b32 s26, vcc_lo, exec_lo
	s_branch .LBB28_21
.LBB28_33:                              ;   in Loop: Header=BB28_19 Depth=1
	s_or_b32 exec_lo, exec_lo, s24
	v_mov_b32_e32 v13, v37
.LBB28_34:                              ;   in Loop: Header=BB28_19 Depth=1
	s_wait_alu 0xfffe
	s_or_b32 exec_lo, exec_lo, s9
	s_delay_alu instid0(SALU_CYCLE_1)
	s_mov_b32 s9, exec_lo
	s_wait_loadcnt_dscnt 0x0
	s_barrier_signal -1
	s_barrier_wait -1
	global_inv scope:SCOPE_SE
	v_cmpx_lt_i32_e64 v15, v27
	s_cbranch_execz .LBB28_49
; %bb.35:                               ;   in Loop: Header=BB28_19 Depth=1
	v_mul_lo_u32 v18, s11, v15
	v_ashrrev_i32_e32 v16, 31, v15
	s_mov_b32 s24, 0
	s_delay_alu instid0(VALU_DEP_1) | instskip(SKIP_1) | instid1(VALU_DEP_4)
	v_lshlrev_b64_e32 v[37:38], 2, v[15:16]
	v_mov_b32_e32 v16, 0
	v_add_nc_u32_e32 v22, v19, v18
	v_add_nc_u32_e32 v18, v20, v18
	s_delay_alu instid0(VALU_DEP_2) | instskip(NEXT) | instid1(VALU_DEP_2)
	v_mad_co_u64_u32 v[22:23], null, s11, v22, v[20:21]
	v_mad_co_u64_u32 v[23:24], null, s11, v18, v[19:20]
	v_add_co_u32 v24, vcc_lo, s18, v37
	s_wait_alu 0xfffd
	v_add_co_ci_u32_e64 v25, null, s19, v38, vcc_lo
	s_branch .LBB28_37
.LBB28_36:                              ;   in Loop: Header=BB28_37 Depth=2
	s_or_b32 exec_lo, exec_lo, s25
	v_mov_b32_e32 v37, v15
	v_mov_b32_e32 v15, v18
	s_and_b32 s3, exec_lo, s26
	s_wait_alu 0xfffe
	s_or_b32 s24, s3, s24
	s_delay_alu instid0(SALU_CYCLE_1)
	s_and_not1_b32 exec_lo, exec_lo, s24
	s_cbranch_execz .LBB28_48
.LBB28_37:                              ;   Parent Loop BB28_19 Depth=1
                                        ; =>  This Inner Loop Header: Depth=2
	global_load_b32 v18, v[24:25], off
	s_wait_loadcnt 0x0
	v_subrev_nc_u32_e32 v18, s5, v18
	s_delay_alu instid0(VALU_DEP_1) | instskip(SKIP_1) | instid1(SALU_CYCLE_1)
	v_cmp_le_i32_e64 s3, v18, v36
	s_and_saveexec_b32 s25, s3
	s_xor_b32 s25, exec_lo, s25
	s_cbranch_execz .LBB28_44
; %bb.38:                               ;   in Loop: Header=BB28_37 Depth=2
	ds_store_b32 v29, v35
	s_and_saveexec_b32 s26, s0
	s_cbranch_execz .LBB28_43
; %bb.39:                               ;   in Loop: Header=BB28_37 Depth=2
	s_and_b32 vcc_lo, exec_lo, s7
	s_mov_b32 s27, -1
	s_wait_alu 0xfffe
	s_cbranch_vccz .LBB28_41
; %bb.40:                               ;   in Loop: Header=BB28_37 Depth=2
	v_add_nc_u32_e32 v37, v23, v16
	ds_load_b128 v[41:44], v31
	s_mov_b32 s27, 0
	v_ashrrev_i32_e32 v38, 31, v37
	s_delay_alu instid0(VALU_DEP_1) | instskip(SKIP_1) | instid1(VALU_DEP_1)
	v_lshlrev_b64_e32 v[37:38], 4, v[37:38]
	s_wait_kmcnt 0x0
	v_add_co_u32 v37, vcc_lo, s20, v37
	s_wait_alu 0xfffd
	s_delay_alu instid0(VALU_DEP_2) | instskip(SKIP_4) | instid1(VALU_DEP_2)
	v_add_co_ci_u32_e64 v38, null, s21, v38, vcc_lo
	global_load_b128 v[37:40], v[37:38], off
	s_wait_loadcnt_dscnt 0x0
	v_fma_f64 v[41:42], v[1:2], v[37:38], v[41:42]
	v_fma_f64 v[43:44], v[3:4], v[37:38], v[43:44]
	v_fma_f64 v[37:38], -v[3:4], v[39:40], v[41:42]
	s_delay_alu instid0(VALU_DEP_2)
	v_fma_f64 v[39:40], v[1:2], v[39:40], v[43:44]
	ds_store_b128 v31, v[37:40]
.LBB28_41:                              ;   in Loop: Header=BB28_37 Depth=2
	s_and_not1_b32 vcc_lo, exec_lo, s27
	s_wait_alu 0xfffe
	s_cbranch_vccnz .LBB28_43
; %bb.42:                               ;   in Loop: Header=BB28_37 Depth=2
	v_add_nc_u32_e32 v37, v22, v16
	ds_load_b128 v[41:44], v32
	v_ashrrev_i32_e32 v38, 31, v37
	s_delay_alu instid0(VALU_DEP_1) | instskip(SKIP_1) | instid1(VALU_DEP_1)
	v_lshlrev_b64_e32 v[37:38], 4, v[37:38]
	s_wait_kmcnt 0x0
	v_add_co_u32 v37, vcc_lo, s20, v37
	s_wait_alu 0xfffd
	s_delay_alu instid0(VALU_DEP_2) | instskip(SKIP_4) | instid1(VALU_DEP_2)
	v_add_co_ci_u32_e64 v38, null, s21, v38, vcc_lo
	global_load_b128 v[37:40], v[37:38], off
	s_wait_loadcnt_dscnt 0x0
	v_fma_f64 v[41:42], v[1:2], v[37:38], v[41:42]
	v_fma_f64 v[43:44], v[3:4], v[37:38], v[43:44]
	v_fma_f64 v[37:38], -v[3:4], v[39:40], v[41:42]
	s_delay_alu instid0(VALU_DEP_2)
	v_fma_f64 v[39:40], v[1:2], v[39:40], v[43:44]
	ds_store_b128 v32, v[37:40]
.LBB28_43:                              ;   in Loop: Header=BB28_37 Depth=2
	s_or_b32 exec_lo, exec_lo, s26
                                        ; implicit-def: $vgpr18
	s_and_not1_saveexec_b32 s25, s25
	s_branch .LBB28_45
.LBB28_44:                              ;   in Loop: Header=BB28_37 Depth=2
	s_and_not1_saveexec_b32 s25, s25
.LBB28_45:                              ;   in Loop: Header=BB28_37 Depth=2
	v_min_i32_e32 v14, v18, v14
; %bb.46:                               ;   in Loop: Header=BB28_37 Depth=2
	s_or_b32 exec_lo, exec_lo, s25
	s_mov_b32 s26, -1
                                        ; implicit-def: $vgpr18
	s_and_saveexec_b32 s25, s3
	s_cbranch_execz .LBB28_36
; %bb.47:                               ;   in Loop: Header=BB28_37 Depth=2
	v_dual_mov_b32 v15, v27 :: v_dual_add_nc_u32 v18, 1, v15
	v_add_co_u32 v24, s3, v24, 4
	v_add_nc_u32_e32 v16, s8, v16
	s_delay_alu instid0(VALU_DEP_3)
	v_cmp_ge_i32_e32 vcc_lo, v18, v27
	s_wait_alu 0xf1ff
	v_add_co_ci_u32_e64 v25, null, 0, v25, s3
	s_or_not1_b32 s26, vcc_lo, exec_lo
	s_branch .LBB28_36
.LBB28_48:                              ;   in Loop: Header=BB28_19 Depth=1
	s_or_b32 exec_lo, exec_lo, s24
	v_mov_b32_e32 v15, v37
.LBB28_49:                              ;   in Loop: Header=BB28_19 Depth=1
	s_wait_alu 0xfffe
	s_or_b32 exec_lo, exec_lo, s9
	s_wait_loadcnt_dscnt 0x0
	s_barrier_signal -1
	s_barrier_wait -1
	global_inv scope:SCOPE_SE
	ds_load_b32 v16, v29
	s_mov_b32 s3, exec_lo
	s_wait_dscnt 0x0
	v_cmpx_ne_u32_e32 0, v16
	s_cbranch_execz .LBB28_52
; %bb.50:                               ;   in Loop: Header=BB28_19 Depth=1
	v_ashrrev_i32_e32 v18, 31, v17
	v_add_nc_u32_e32 v16, s6, v36
	s_delay_alu instid0(VALU_DEP_2) | instskip(SKIP_1) | instid1(VALU_DEP_1)
	v_lshlrev_b64_e32 v[22:23], 2, v[17:18]
	s_wait_kmcnt 0x0
	v_add_co_u32 v22, vcc_lo, s12, v22
	s_wait_alu 0xfffd
	s_delay_alu instid0(VALU_DEP_2)
	v_add_co_ci_u32_e64 v23, null, s13, v23, vcc_lo
	global_store_b32 v[22:23], v16, off
	s_and_b32 exec_lo, exec_lo, s0
	s_cbranch_execz .LBB28_52
; %bb.51:                               ;   in Loop: Header=BB28_19 Depth=1
	v_mad_co_u64_u32 v[22:23], null, v17, s11, v[0:1]
	s_delay_alu instid0(VALU_DEP_1) | instskip(SKIP_2) | instid1(VALU_DEP_1)
	v_mad_co_u64_u32 v[36:37], null, v22, s11, v[21:22]
	ds_load_2addr_b64 v[22:25], v34 offset1:1
	v_ashrrev_i32_e32 v37, 31, v36
	v_lshlrev_b64_e32 v[36:37], 4, v[36:37]
	s_delay_alu instid0(VALU_DEP_1) | instskip(SKIP_1) | instid1(VALU_DEP_2)
	v_add_co_u32 v36, vcc_lo, s14, v36
	s_wait_alu 0xfffd
	v_add_co_ci_u32_e64 v37, null, s15, v37, vcc_lo
	s_wait_dscnt 0x0
	global_store_b128 v[36:37], v[22:25], off
.LBB28_52:                              ;   in Loop: Header=BB28_19 Depth=1
	s_wait_alu 0xfffe
	s_or_b32 exec_lo, exec_lo, s3
	v_cmp_le_i32_e32 vcc_lo, s10, v14
	s_wait_loadcnt 0x0
	s_wait_storecnt 0x0
	s_barrier_signal -1
	s_barrier_wait -1
	global_inv scope:SCOPE_SE
	s_wait_alu 0xfffd
	v_cndmask_b32_e64 v16, 0, 1, vcc_lo
	s_wait_loadcnt 0x0
	s_barrier_signal -1
	s_barrier_wait -1
	global_inv scope:SCOPE_SE
	ds_store_b32 v28, v16
	s_wait_loadcnt_dscnt 0x0
	s_barrier_signal -1
	s_barrier_wait -1
	global_inv scope:SCOPE_SE
	s_and_saveexec_b32 s3, s1
	s_cbranch_execz .LBB28_54
; %bb.53:                               ;   in Loop: Header=BB28_19 Depth=1
	ds_load_2addr_b32 v[22:23], v33 offset1:2
	s_wait_dscnt 0x0
	v_add_nc_u32_e32 v16, v23, v22
	ds_store_b32 v33, v16
.LBB28_54:                              ;   in Loop: Header=BB28_19 Depth=1
	s_wait_alu 0xfffe
	s_or_b32 exec_lo, exec_lo, s3
	s_wait_loadcnt_dscnt 0x0
	s_barrier_signal -1
	s_barrier_wait -1
	global_inv scope:SCOPE_SE
	s_and_saveexec_b32 s3, s2
	s_cbranch_execz .LBB28_18
; %bb.55:                               ;   in Loop: Header=BB28_19 Depth=1
	ds_load_b64 v[22:23], v5 offset:1024
	s_wait_dscnt 0x0
	v_add_nc_u32_e32 v16, v23, v22
	ds_store_b32 v5, v16 offset:1024
	s_branch .LBB28_18
.LBB28_56:
	s_endpgm
	.section	.rodata,"a",@progbits
	.p2align	6, 0x0
	.amdhsa_kernel _ZN9rocsparseL35bsrgeam_wf_per_row_multipass_kernelILj64ELj4E21rocsparse_complex_numIdEEEv20rocsparse_direction_iiiNS_24const_host_device_scalarIT1_EEPKiS8_PKS5_S6_S8_S8_SA_S8_PiPS5_21rocsparse_index_base_SD_SD_b
		.amdhsa_group_segment_fixed_size 1056
		.amdhsa_private_segment_fixed_size 16
		.amdhsa_kernarg_size 136
		.amdhsa_user_sgpr_count 2
		.amdhsa_user_sgpr_dispatch_ptr 0
		.amdhsa_user_sgpr_queue_ptr 0
		.amdhsa_user_sgpr_kernarg_segment_ptr 1
		.amdhsa_user_sgpr_dispatch_id 0
		.amdhsa_user_sgpr_private_segment_size 0
		.amdhsa_wavefront_size32 1
		.amdhsa_uses_dynamic_stack 0
		.amdhsa_enable_private_segment 1
		.amdhsa_system_sgpr_workgroup_id_x 1
		.amdhsa_system_sgpr_workgroup_id_y 0
		.amdhsa_system_sgpr_workgroup_id_z 0
		.amdhsa_system_sgpr_workgroup_info 0
		.amdhsa_system_vgpr_workitem_id 0
		.amdhsa_next_free_vgpr 45
		.amdhsa_next_free_sgpr 28
		.amdhsa_reserve_vcc 1
		.amdhsa_float_round_mode_32 0
		.amdhsa_float_round_mode_16_64 0
		.amdhsa_float_denorm_mode_32 3
		.amdhsa_float_denorm_mode_16_64 3
		.amdhsa_fp16_overflow 0
		.amdhsa_workgroup_processor_mode 1
		.amdhsa_memory_ordered 1
		.amdhsa_forward_progress 1
		.amdhsa_inst_pref_size 21
		.amdhsa_round_robin_scheduling 0
		.amdhsa_exception_fp_ieee_invalid_op 0
		.amdhsa_exception_fp_denorm_src 0
		.amdhsa_exception_fp_ieee_div_zero 0
		.amdhsa_exception_fp_ieee_overflow 0
		.amdhsa_exception_fp_ieee_underflow 0
		.amdhsa_exception_fp_ieee_inexact 0
		.amdhsa_exception_int_div_zero 0
	.end_amdhsa_kernel
	.section	.text._ZN9rocsparseL35bsrgeam_wf_per_row_multipass_kernelILj64ELj4E21rocsparse_complex_numIdEEEv20rocsparse_direction_iiiNS_24const_host_device_scalarIT1_EEPKiS8_PKS5_S6_S8_S8_SA_S8_PiPS5_21rocsparse_index_base_SD_SD_b,"axG",@progbits,_ZN9rocsparseL35bsrgeam_wf_per_row_multipass_kernelILj64ELj4E21rocsparse_complex_numIdEEEv20rocsparse_direction_iiiNS_24const_host_device_scalarIT1_EEPKiS8_PKS5_S6_S8_S8_SA_S8_PiPS5_21rocsparse_index_base_SD_SD_b,comdat
.Lfunc_end28:
	.size	_ZN9rocsparseL35bsrgeam_wf_per_row_multipass_kernelILj64ELj4E21rocsparse_complex_numIdEEEv20rocsparse_direction_iiiNS_24const_host_device_scalarIT1_EEPKiS8_PKS5_S6_S8_S8_SA_S8_PiPS5_21rocsparse_index_base_SD_SD_b, .Lfunc_end28-_ZN9rocsparseL35bsrgeam_wf_per_row_multipass_kernelILj64ELj4E21rocsparse_complex_numIdEEEv20rocsparse_direction_iiiNS_24const_host_device_scalarIT1_EEPKiS8_PKS5_S6_S8_S8_SA_S8_PiPS5_21rocsparse_index_base_SD_SD_b
                                        ; -- End function
	.set _ZN9rocsparseL35bsrgeam_wf_per_row_multipass_kernelILj64ELj4E21rocsparse_complex_numIdEEEv20rocsparse_direction_iiiNS_24const_host_device_scalarIT1_EEPKiS8_PKS5_S6_S8_S8_SA_S8_PiPS5_21rocsparse_index_base_SD_SD_b.num_vgpr, 45
	.set _ZN9rocsparseL35bsrgeam_wf_per_row_multipass_kernelILj64ELj4E21rocsparse_complex_numIdEEEv20rocsparse_direction_iiiNS_24const_host_device_scalarIT1_EEPKiS8_PKS5_S6_S8_S8_SA_S8_PiPS5_21rocsparse_index_base_SD_SD_b.num_agpr, 0
	.set _ZN9rocsparseL35bsrgeam_wf_per_row_multipass_kernelILj64ELj4E21rocsparse_complex_numIdEEEv20rocsparse_direction_iiiNS_24const_host_device_scalarIT1_EEPKiS8_PKS5_S6_S8_S8_SA_S8_PiPS5_21rocsparse_index_base_SD_SD_b.numbered_sgpr, 28
	.set _ZN9rocsparseL35bsrgeam_wf_per_row_multipass_kernelILj64ELj4E21rocsparse_complex_numIdEEEv20rocsparse_direction_iiiNS_24const_host_device_scalarIT1_EEPKiS8_PKS5_S6_S8_S8_SA_S8_PiPS5_21rocsparse_index_base_SD_SD_b.num_named_barrier, 0
	.set _ZN9rocsparseL35bsrgeam_wf_per_row_multipass_kernelILj64ELj4E21rocsparse_complex_numIdEEEv20rocsparse_direction_iiiNS_24const_host_device_scalarIT1_EEPKiS8_PKS5_S6_S8_S8_SA_S8_PiPS5_21rocsparse_index_base_SD_SD_b.private_seg_size, 16
	.set _ZN9rocsparseL35bsrgeam_wf_per_row_multipass_kernelILj64ELj4E21rocsparse_complex_numIdEEEv20rocsparse_direction_iiiNS_24const_host_device_scalarIT1_EEPKiS8_PKS5_S6_S8_S8_SA_S8_PiPS5_21rocsparse_index_base_SD_SD_b.uses_vcc, 1
	.set _ZN9rocsparseL35bsrgeam_wf_per_row_multipass_kernelILj64ELj4E21rocsparse_complex_numIdEEEv20rocsparse_direction_iiiNS_24const_host_device_scalarIT1_EEPKiS8_PKS5_S6_S8_S8_SA_S8_PiPS5_21rocsparse_index_base_SD_SD_b.uses_flat_scratch, 0
	.set _ZN9rocsparseL35bsrgeam_wf_per_row_multipass_kernelILj64ELj4E21rocsparse_complex_numIdEEEv20rocsparse_direction_iiiNS_24const_host_device_scalarIT1_EEPKiS8_PKS5_S6_S8_S8_SA_S8_PiPS5_21rocsparse_index_base_SD_SD_b.has_dyn_sized_stack, 0
	.set _ZN9rocsparseL35bsrgeam_wf_per_row_multipass_kernelILj64ELj4E21rocsparse_complex_numIdEEEv20rocsparse_direction_iiiNS_24const_host_device_scalarIT1_EEPKiS8_PKS5_S6_S8_S8_SA_S8_PiPS5_21rocsparse_index_base_SD_SD_b.has_recursion, 0
	.set _ZN9rocsparseL35bsrgeam_wf_per_row_multipass_kernelILj64ELj4E21rocsparse_complex_numIdEEEv20rocsparse_direction_iiiNS_24const_host_device_scalarIT1_EEPKiS8_PKS5_S6_S8_S8_SA_S8_PiPS5_21rocsparse_index_base_SD_SD_b.has_indirect_call, 0
	.section	.AMDGPU.csdata,"",@progbits
; Kernel info:
; codeLenInByte = 2688
; TotalNumSgprs: 30
; NumVgprs: 45
; ScratchSize: 16
; MemoryBound: 0
; FloatMode: 240
; IeeeMode: 1
; LDSByteSize: 1056 bytes/workgroup (compile time only)
; SGPRBlocks: 0
; VGPRBlocks: 5
; NumSGPRsForWavesPerEU: 30
; NumVGPRsForWavesPerEU: 45
; Occupancy: 16
; WaveLimiterHint : 1
; COMPUTE_PGM_RSRC2:SCRATCH_EN: 1
; COMPUTE_PGM_RSRC2:USER_SGPR: 2
; COMPUTE_PGM_RSRC2:TRAP_HANDLER: 0
; COMPUTE_PGM_RSRC2:TGID_X_EN: 1
; COMPUTE_PGM_RSRC2:TGID_Y_EN: 0
; COMPUTE_PGM_RSRC2:TGID_Z_EN: 0
; COMPUTE_PGM_RSRC2:TIDIG_COMP_CNT: 0
	.section	.text._ZN9rocsparseL35bsrgeam_wf_per_row_multipass_kernelILj64ELj8E21rocsparse_complex_numIdEEEv20rocsparse_direction_iiiNS_24const_host_device_scalarIT1_EEPKiS8_PKS5_S6_S8_S8_SA_S8_PiPS5_21rocsparse_index_base_SD_SD_b,"axG",@progbits,_ZN9rocsparseL35bsrgeam_wf_per_row_multipass_kernelILj64ELj8E21rocsparse_complex_numIdEEEv20rocsparse_direction_iiiNS_24const_host_device_scalarIT1_EEPKiS8_PKS5_S6_S8_S8_SA_S8_PiPS5_21rocsparse_index_base_SD_SD_b,comdat
	.globl	_ZN9rocsparseL35bsrgeam_wf_per_row_multipass_kernelILj64ELj8E21rocsparse_complex_numIdEEEv20rocsparse_direction_iiiNS_24const_host_device_scalarIT1_EEPKiS8_PKS5_S6_S8_S8_SA_S8_PiPS5_21rocsparse_index_base_SD_SD_b ; -- Begin function _ZN9rocsparseL35bsrgeam_wf_per_row_multipass_kernelILj64ELj8E21rocsparse_complex_numIdEEEv20rocsparse_direction_iiiNS_24const_host_device_scalarIT1_EEPKiS8_PKS5_S6_S8_S8_SA_S8_PiPS5_21rocsparse_index_base_SD_SD_b
	.p2align	8
	.type	_ZN9rocsparseL35bsrgeam_wf_per_row_multipass_kernelILj64ELj8E21rocsparse_complex_numIdEEEv20rocsparse_direction_iiiNS_24const_host_device_scalarIT1_EEPKiS8_PKS5_S6_S8_S8_SA_S8_PiPS5_21rocsparse_index_base_SD_SD_b,@function
_ZN9rocsparseL35bsrgeam_wf_per_row_multipass_kernelILj64ELj8E21rocsparse_complex_numIdEEEv20rocsparse_direction_iiiNS_24const_host_device_scalarIT1_EEPKiS8_PKS5_S6_S8_S8_SA_S8_PiPS5_21rocsparse_index_base_SD_SD_b: ; @_ZN9rocsparseL35bsrgeam_wf_per_row_multipass_kernelILj64ELj8E21rocsparse_complex_numIdEEEv20rocsparse_direction_iiiNS_24const_host_device_scalarIT1_EEPKiS8_PKS5_S6_S8_S8_SA_S8_PiPS5_21rocsparse_index_base_SD_SD_b
; %bb.0:
	s_clause 0x1
	s_load_b128 s[4:7], s[0:1], 0x78
	s_load_b128 s[8:11], s[0:1], 0x10
	s_mov_b64 s[12:13], src_private_base
	s_load_b64 s[2:3], s[0:1], 0x20
	s_wait_kmcnt 0x0
	s_bitcmp1_b32 s7, 0
	v_dual_mov_b32 v1, s8 :: v_dual_mov_b32 v2, s9
	s_cselect_b32 s7, -1, 0
	v_dual_mov_b32 v12, s11 :: v_dual_mov_b32 v11, s10
	s_and_b32 vcc_lo, s7, exec_lo
	s_cselect_b32 s12, 0, s8
	s_cselect_b32 s13, s13, s9
	s_delay_alu instid0(SALU_CYCLE_1)
	v_dual_mov_b32 v3, s12 :: v_dual_mov_b32 v4, s13
	scratch_store_b64 off, v[1:2], off
	flat_load_b64 v[9:10], v[3:4]
	s_cbranch_vccnz .LBB29_2
; %bb.1:
	v_dual_mov_b32 v1, s8 :: v_dual_mov_b32 v2, s9
	flat_load_b64 v[11:12], v[1:2] offset:8
.LBB29_2:
	s_load_b64 s[8:9], s[0:1], 0x38
	s_add_nc_u64 s[10:11], s[0:1], 56
	s_and_b32 s7, s7, exec_lo
	v_dual_mov_b32 v13, 0 :: v_dual_mov_b32 v26, 0
	s_wait_kmcnt 0x0
	s_wait_alu 0xfffe
	s_cselect_b32 s7, s10, s8
	s_cselect_b32 s8, s11, s9
	s_wait_alu 0xfffe
	v_dual_mov_b32 v5, ttmp9 :: v_dual_mov_b32 v2, s8
	v_mov_b32_e32 v1, s7
	s_load_b128 s[8:11], s[0:1], 0x0
	flat_load_b128 v[1:4], v[1:2]
	s_wait_kmcnt 0x0
	s_cmp_ge_i32 ttmp9, s9
	s_cselect_b32 s7, -1, 0
	s_cmp_lt_i32 ttmp9, s9
	s_cselect_b32 s9, -1, 0
	s_wait_alu 0xfffe
	s_and_saveexec_b32 s12, s9
	s_cbranch_execz .LBB29_4
; %bb.3:
	v_ashrrev_i32_e64 v6, 31, ttmp9
	s_delay_alu instid0(VALU_DEP_1) | instskip(NEXT) | instid1(VALU_DEP_1)
	v_lshlrev_b64_e32 v[6:7], 2, v[5:6]
	v_add_co_u32 v6, vcc_lo, s2, v6
	s_delay_alu instid0(VALU_DEP_1)
	v_add_co_ci_u32_e64 v7, null, s3, v7, vcc_lo
	global_load_b32 v6, v[6:7], off
	s_wait_loadcnt 0x0
	v_subrev_nc_u32_e32 v13, s4, v6
.LBB29_4:
	s_wait_alu 0xfffe
	s_or_b32 exec_lo, exec_lo, s12
	s_load_b64 s[12:13], s[0:1], 0x48
	s_and_saveexec_b32 s14, s9
	s_cbranch_execz .LBB29_6
; %bb.5:
	v_ashrrev_i32_e64 v6, 31, ttmp9
	s_delay_alu instid0(VALU_DEP_1) | instskip(NEXT) | instid1(VALU_DEP_1)
	v_lshlrev_b64_e32 v[6:7], 2, v[5:6]
	v_add_co_u32 v6, vcc_lo, s2, v6
	s_wait_alu 0xfffd
	s_delay_alu instid0(VALU_DEP_2)
	v_add_co_ci_u32_e64 v7, null, s3, v7, vcc_lo
	global_load_b32 v6, v[6:7], off offset:4
	s_wait_loadcnt 0x0
	v_subrev_nc_u32_e32 v26, s4, v6
.LBB29_6:
	s_or_b32 exec_lo, exec_lo, s14
	v_mov_b32_e32 v27, 0
	v_mov_b32_e32 v15, 0
	s_and_saveexec_b32 s2, s9
	s_cbranch_execz .LBB29_8
; %bb.7:
	v_ashrrev_i32_e64 v6, 31, ttmp9
	s_delay_alu instid0(VALU_DEP_1) | instskip(SKIP_1) | instid1(VALU_DEP_1)
	v_lshlrev_b64_e32 v[6:7], 2, v[5:6]
	s_wait_kmcnt 0x0
	v_add_co_u32 v6, vcc_lo, s12, v6
	s_wait_alu 0xfffd
	s_delay_alu instid0(VALU_DEP_2)
	v_add_co_ci_u32_e64 v7, null, s13, v7, vcc_lo
	global_load_b32 v6, v[6:7], off
	s_wait_loadcnt 0x0
	v_subrev_nc_u32_e32 v15, s5, v6
.LBB29_8:
	s_wait_alu 0xfffe
	s_or_b32 exec_lo, exec_lo, s2
	s_and_saveexec_b32 s2, s9
	s_cbranch_execz .LBB29_10
; %bb.9:
	v_ashrrev_i32_e64 v6, 31, ttmp9
	s_delay_alu instid0(VALU_DEP_1) | instskip(SKIP_1) | instid1(VALU_DEP_1)
	v_lshlrev_b64_e32 v[6:7], 2, v[5:6]
	s_wait_kmcnt 0x0
	v_add_co_u32 v6, vcc_lo, s12, v6
	s_wait_alu 0xfffd
	s_delay_alu instid0(VALU_DEP_2)
	v_add_co_ci_u32_e64 v7, null, s13, v7, vcc_lo
	global_load_b32 v6, v[6:7], off offset:4
	s_wait_loadcnt 0x0
	v_subrev_nc_u32_e32 v27, s5, v6
.LBB29_10:
	s_wait_alu 0xfffe
	s_or_b32 exec_lo, exec_lo, s2
	s_load_b64 s[2:3], s[0:1], 0x28
	v_mov_b32_e32 v17, 0
	s_wait_kmcnt 0x0
	s_and_saveexec_b32 s12, s9
	s_cbranch_execz .LBB29_12
; %bb.11:
	s_load_b64 s[14:15], s[0:1], 0x60
	v_ashrrev_i32_e64 v6, 31, ttmp9
	s_delay_alu instid0(VALU_DEP_1) | instskip(SKIP_1) | instid1(VALU_DEP_1)
	v_lshlrev_b64_e32 v[5:6], 2, v[5:6]
	s_wait_kmcnt 0x0
	v_add_co_u32 v5, vcc_lo, s14, v5
	s_wait_alu 0xfffd
	s_delay_alu instid0(VALU_DEP_2)
	v_add_co_ci_u32_e64 v6, null, s15, v6, vcc_lo
	global_load_b32 v5, v[5:6], off
	s_wait_loadcnt 0x0
	v_subrev_nc_u32_e32 v17, s6, v5
.LBB29_12:
	s_wait_alu 0xfffe
	s_or_b32 exec_lo, exec_lo, s12
	s_load_b64 s[16:17], s[0:1], 0x50
	v_mov_b32_e32 v6, s10
	s_mov_b32 s9, exec_lo
	v_cmpx_lt_i32_e64 v13, v26
	s_cbranch_execz .LBB29_14
; %bb.13:
	v_ashrrev_i32_e32 v14, 31, v13
	s_delay_alu instid0(VALU_DEP_1) | instskip(NEXT) | instid1(VALU_DEP_1)
	v_lshlrev_b64_e32 v[5:6], 2, v[13:14]
	v_add_co_u32 v5, vcc_lo, s2, v5
	s_wait_alu 0xfffd
	s_delay_alu instid0(VALU_DEP_2)
	v_add_co_ci_u32_e64 v6, null, s3, v6, vcc_lo
	global_load_b32 v5, v[5:6], off
	s_wait_loadcnt 0x0
	v_subrev_nc_u32_e32 v6, s4, v5
.LBB29_14:
	s_wait_alu 0xfffe
	s_or_b32 exec_lo, exec_lo, s9
	v_mov_b32_e32 v7, s10
	s_mov_b32 s9, exec_lo
	v_cmpx_lt_i32_e64 v15, v27
	s_cbranch_execz .LBB29_16
; %bb.15:
	v_ashrrev_i32_e32 v16, 31, v15
	s_delay_alu instid0(VALU_DEP_1) | instskip(SKIP_1) | instid1(VALU_DEP_1)
	v_lshlrev_b64_e32 v[7:8], 2, v[15:16]
	s_wait_kmcnt 0x0
	v_add_co_u32 v7, vcc_lo, s16, v7
	s_wait_alu 0xfffd
	s_delay_alu instid0(VALU_DEP_2)
	v_add_co_ci_u32_e64 v8, null, s17, v8, vcc_lo
	global_load_b32 v5, v[7:8], off
	s_wait_loadcnt 0x0
	v_subrev_nc_u32_e32 v7, s5, v5
.LBB29_16:
	s_wait_alu 0xfffe
	s_or_b32 exec_lo, exec_lo, s9
	v_cndmask_b32_e64 v8, 0, 1, s7
	v_mov_b32_e32 v5, 0
	ds_store_b32 v5, v8 offset:1024
	s_wait_storecnt 0x0
	s_wait_loadcnt_dscnt 0x0
	s_barrier_signal -1
	s_barrier_wait -1
	global_inv scope:SCOPE_SE
	ds_load_b32 v8, v5 offset:1024
	s_wait_dscnt 0x0
	v_cmp_ne_u32_e32 vcc_lo, 0, v8
	s_cbranch_vccz .LBB29_18
.LBB29_17:
	s_endpgm
.LBB29_18:
	s_clause 0x2
	s_load_b128 s[12:15], s[0:1], 0x68
	s_load_b64 s[18:19], s[0:1], 0x58
	s_load_b64 s[20:21], s[0:1], 0x30
	v_dual_mov_b32 v28, 0x400 :: v_dual_and_b32 v19, 7, v0
	v_lshrrev_b32_e32 v20, 3, v0
	s_cmp_lg_u32 s8, 0
	v_min_i32_e32 v14, v7, v6
	s_cselect_b32 s7, -1, 0
	s_cmp_eq_u32 s8, 0
	v_dual_mov_b32 v29, 0x404 :: v_dual_lshlrev_b32 v30, 4, v0
	v_lshlrev_b32_e32 v6, 4, v20
	v_max_i32_e32 v7, v20, v19
	s_cselect_b32 vcc_lo, -1, 0
	s_wait_alu 0xfffe
	v_dual_cndmask_b32 v21, v19, v20 :: v_dual_lshlrev_b32 v0, 4, v19
	v_mov_b32_e32 v8, v5
	v_cmp_gt_i32_e64 s0, s11, v7
	v_mov_b32_e32 v7, v5
	s_delay_alu instid0(VALU_DEP_4)
	v_lshl_or_b32 v31, v20, 7, v0
	v_lshl_or_b32 v32, v19, 7, v6
	v_cndmask_b32_e32 v0, v20, v19, vcc_lo
	v_mov_b32_e32 v6, v5
	v_mov_b32_e32 v34, 1
	s_mul_i32 s8, s11, s11
	v_cndmask_b32_e32 v33, v31, v32, vcc_lo
	s_branch .LBB29_20
.LBB29_19:                              ;   in Loop: Header=BB29_20 Depth=1
	s_wait_alu 0xfffe
	s_or_b32 exec_lo, exec_lo, s1
	v_cmp_le_i32_e32 vcc_lo, s10, v14
	s_wait_loadcnt 0x0
	s_wait_storecnt 0x0
	s_barrier_signal -1
	s_barrier_wait -1
	global_inv scope:SCOPE_SE
	s_wait_alu 0xfffd
	v_cndmask_b32_e64 v16, 0, 1, vcc_lo
	s_wait_loadcnt 0x0
	s_barrier_signal -1
	s_barrier_wait -1
	global_inv scope:SCOPE_SE
	ds_store_b32 v28, v16
	s_wait_loadcnt_dscnt 0x0
	s_barrier_signal -1
	s_barrier_wait -1
	global_inv scope:SCOPE_SE
	ds_load_b32 v16, v5 offset:1024
	v_add_nc_u32_e32 v17, 1, v17
	s_wait_dscnt 0x0
	v_cmp_eq_u32_e32 vcc_lo, 0, v16
	s_cbranch_vccz .LBB29_17
.LBB29_20:                              ; =>This Loop Header: Depth=1
                                        ;     Child Loop BB29_23 Depth 2
                                        ;     Child Loop BB29_38 Depth 2
	v_dual_mov_b32 v35, v14 :: v_dual_mov_b32 v14, s10
	s_mov_b32 s9, exec_lo
	ds_store_b32 v29, v5
	ds_store_b128 v30, v[5:8]
	s_wait_loadcnt_dscnt 0x0
	s_barrier_signal -1
	s_barrier_wait -1
	global_inv scope:SCOPE_SE
	v_cmpx_lt_i32_e64 v13, v26
	s_cbranch_execz .LBB29_35
; %bb.21:                               ;   in Loop: Header=BB29_20 Depth=1
	v_mul_lo_u32 v16, s11, v13
	v_ashrrev_i32_e32 v14, 31, v13
	s_mov_b32 s22, 0
	s_delay_alu instid0(VALU_DEP_1) | instskip(SKIP_1) | instid1(VALU_DEP_4)
	v_lshlrev_b64_e32 v[36:37], 2, v[13:14]
	v_mov_b32_e32 v14, s10
	v_add_nc_u32_e32 v18, v19, v16
	v_add_nc_u32_e32 v16, v20, v16
	s_delay_alu instid0(VALU_DEP_2) | instskip(NEXT) | instid1(VALU_DEP_2)
	v_mad_co_u64_u32 v[22:23], null, s11, v18, v[20:21]
	v_mad_co_u64_u32 v[23:24], null, s11, v16, v[19:20]
	v_add_co_u32 v24, vcc_lo, s2, v36
	s_wait_alu 0xfffd
	v_add_co_ci_u32_e64 v25, null, s3, v37, vcc_lo
	v_mov_b32_e32 v16, 0
	s_branch .LBB29_23
.LBB29_22:                              ;   in Loop: Header=BB29_23 Depth=2
	s_or_b32 exec_lo, exec_lo, s23
	v_dual_mov_b32 v36, v13 :: v_dual_mov_b32 v13, v18
	s_and_b32 s1, exec_lo, s24
	s_wait_alu 0xfffe
	s_or_b32 s22, s1, s22
	s_delay_alu instid0(SALU_CYCLE_1)
	s_and_not1_b32 exec_lo, exec_lo, s22
	s_cbranch_execz .LBB29_34
.LBB29_23:                              ;   Parent Loop BB29_20 Depth=1
                                        ; =>  This Inner Loop Header: Depth=2
	global_load_b32 v18, v[24:25], off
	s_wait_loadcnt 0x0
	v_subrev_nc_u32_e32 v18, s4, v18
	s_delay_alu instid0(VALU_DEP_1) | instskip(SKIP_1) | instid1(SALU_CYCLE_1)
	v_cmp_le_i32_e64 s1, v18, v35
	s_and_saveexec_b32 s23, s1
	s_xor_b32 s23, exec_lo, s23
	s_cbranch_execz .LBB29_30
; %bb.24:                               ;   in Loop: Header=BB29_23 Depth=2
	ds_store_b32 v29, v34
	s_and_saveexec_b32 s24, s0
	s_cbranch_execz .LBB29_29
; %bb.25:                               ;   in Loop: Header=BB29_23 Depth=2
	s_and_b32 vcc_lo, exec_lo, s7
	s_mov_b32 s25, -1
	s_wait_alu 0xfffe
	s_cbranch_vccz .LBB29_27
; %bb.26:                               ;   in Loop: Header=BB29_23 Depth=2
	v_add_nc_u32_e32 v36, v23, v16
	s_mov_b32 s25, 0
	s_delay_alu instid0(VALU_DEP_1) | instskip(NEXT) | instid1(VALU_DEP_1)
	v_ashrrev_i32_e32 v37, 31, v36
	v_lshlrev_b64_e32 v[36:37], 4, v[36:37]
	s_wait_kmcnt 0x0
	s_delay_alu instid0(VALU_DEP_1) | instskip(SKIP_1) | instid1(VALU_DEP_2)
	v_add_co_u32 v36, vcc_lo, s20, v36
	s_wait_alu 0xfffd
	v_add_co_ci_u32_e64 v37, null, s21, v37, vcc_lo
	global_load_b128 v[36:39], v[36:37], off
	s_wait_loadcnt 0x0
	v_mul_f64_e64 v[40:41], v[38:39], -v[11:12]
	v_mul_f64_e32 v[42:43], v[9:10], v[38:39]
	s_delay_alu instid0(VALU_DEP_2) | instskip(NEXT) | instid1(VALU_DEP_2)
	v_fma_f64 v[38:39], v[9:10], v[36:37], v[40:41]
	v_fma_f64 v[40:41], v[11:12], v[36:37], v[42:43]
	ds_store_b128 v31, v[38:41]
.LBB29_27:                              ;   in Loop: Header=BB29_23 Depth=2
	s_and_not1_b32 vcc_lo, exec_lo, s25
	s_wait_alu 0xfffe
	s_cbranch_vccnz .LBB29_29
; %bb.28:                               ;   in Loop: Header=BB29_23 Depth=2
	v_add_nc_u32_e32 v36, v22, v16
	s_delay_alu instid0(VALU_DEP_1) | instskip(NEXT) | instid1(VALU_DEP_1)
	v_ashrrev_i32_e32 v37, 31, v36
	v_lshlrev_b64_e32 v[36:37], 4, v[36:37]
	s_wait_kmcnt 0x0
	s_delay_alu instid0(VALU_DEP_1) | instskip(SKIP_1) | instid1(VALU_DEP_2)
	v_add_co_u32 v36, vcc_lo, s20, v36
	s_wait_alu 0xfffd
	v_add_co_ci_u32_e64 v37, null, s21, v37, vcc_lo
	global_load_b128 v[36:39], v[36:37], off
	s_wait_loadcnt 0x0
	v_mul_f64_e64 v[40:41], v[38:39], -v[11:12]
	v_mul_f64_e32 v[42:43], v[9:10], v[38:39]
	s_delay_alu instid0(VALU_DEP_2) | instskip(NEXT) | instid1(VALU_DEP_2)
	v_fma_f64 v[38:39], v[9:10], v[36:37], v[40:41]
	v_fma_f64 v[40:41], v[11:12], v[36:37], v[42:43]
	ds_store_b128 v32, v[38:41]
.LBB29_29:                              ;   in Loop: Header=BB29_23 Depth=2
	s_or_b32 exec_lo, exec_lo, s24
                                        ; implicit-def: $vgpr18
	s_and_not1_saveexec_b32 s23, s23
	s_branch .LBB29_31
.LBB29_30:                              ;   in Loop: Header=BB29_23 Depth=2
	s_and_not1_saveexec_b32 s23, s23
.LBB29_31:                              ;   in Loop: Header=BB29_23 Depth=2
	v_min_i32_e32 v14, v18, v14
; %bb.32:                               ;   in Loop: Header=BB29_23 Depth=2
	s_or_b32 exec_lo, exec_lo, s23
	s_mov_b32 s24, -1
                                        ; implicit-def: $vgpr18
	s_and_saveexec_b32 s23, s1
	s_cbranch_execz .LBB29_22
; %bb.33:                               ;   in Loop: Header=BB29_23 Depth=2
	v_dual_mov_b32 v13, v26 :: v_dual_add_nc_u32 v18, 1, v13
	v_add_co_u32 v24, s1, v24, 4
	s_wait_alu 0xfffe
	v_add_nc_u32_e32 v16, s8, v16
	s_delay_alu instid0(VALU_DEP_3)
	v_cmp_ge_i32_e32 vcc_lo, v18, v26
	s_wait_alu 0xf1ff
	v_add_co_ci_u32_e64 v25, null, 0, v25, s1
	s_or_not1_b32 s24, vcc_lo, exec_lo
	s_branch .LBB29_22
.LBB29_34:                              ;   in Loop: Header=BB29_20 Depth=1
	s_or_b32 exec_lo, exec_lo, s22
	v_mov_b32_e32 v13, v36
.LBB29_35:                              ;   in Loop: Header=BB29_20 Depth=1
	s_wait_alu 0xfffe
	s_or_b32 exec_lo, exec_lo, s9
	s_delay_alu instid0(SALU_CYCLE_1)
	s_mov_b32 s9, exec_lo
	s_wait_loadcnt_dscnt 0x0
	s_barrier_signal -1
	s_barrier_wait -1
	global_inv scope:SCOPE_SE
	v_cmpx_lt_i32_e64 v15, v27
	s_cbranch_execz .LBB29_50
; %bb.36:                               ;   in Loop: Header=BB29_20 Depth=1
	v_mul_lo_u32 v18, s11, v15
	v_ashrrev_i32_e32 v16, 31, v15
	s_mov_b32 s22, 0
	s_delay_alu instid0(VALU_DEP_1) | instskip(SKIP_1) | instid1(VALU_DEP_4)
	v_lshlrev_b64_e32 v[36:37], 2, v[15:16]
	v_mov_b32_e32 v16, 0
	v_add_nc_u32_e32 v22, v19, v18
	v_add_nc_u32_e32 v18, v20, v18
	s_delay_alu instid0(VALU_DEP_2) | instskip(NEXT) | instid1(VALU_DEP_2)
	v_mad_co_u64_u32 v[22:23], null, s11, v22, v[20:21]
	v_mad_co_u64_u32 v[23:24], null, s11, v18, v[19:20]
	s_wait_kmcnt 0x0
	v_add_co_u32 v24, vcc_lo, s16, v36
	s_wait_alu 0xfffd
	v_add_co_ci_u32_e64 v25, null, s17, v37, vcc_lo
	s_branch .LBB29_38
.LBB29_37:                              ;   in Loop: Header=BB29_38 Depth=2
	s_or_b32 exec_lo, exec_lo, s23
	v_dual_mov_b32 v36, v15 :: v_dual_mov_b32 v15, v18
	s_and_b32 s1, exec_lo, s24
	s_wait_alu 0xfffe
	s_or_b32 s22, s1, s22
	s_delay_alu instid0(SALU_CYCLE_1)
	s_and_not1_b32 exec_lo, exec_lo, s22
	s_cbranch_execz .LBB29_49
.LBB29_38:                              ;   Parent Loop BB29_20 Depth=1
                                        ; =>  This Inner Loop Header: Depth=2
	global_load_b32 v18, v[24:25], off
	s_wait_loadcnt 0x0
	v_subrev_nc_u32_e32 v18, s5, v18
	s_delay_alu instid0(VALU_DEP_1) | instskip(SKIP_1) | instid1(SALU_CYCLE_1)
	v_cmp_le_i32_e64 s1, v18, v35
	s_and_saveexec_b32 s23, s1
	s_xor_b32 s23, exec_lo, s23
	s_cbranch_execz .LBB29_45
; %bb.39:                               ;   in Loop: Header=BB29_38 Depth=2
	ds_store_b32 v29, v34
	s_and_saveexec_b32 s24, s0
	s_cbranch_execz .LBB29_44
; %bb.40:                               ;   in Loop: Header=BB29_38 Depth=2
	s_and_b32 vcc_lo, exec_lo, s7
	s_mov_b32 s25, -1
	s_wait_alu 0xfffe
	s_cbranch_vccz .LBB29_42
; %bb.41:                               ;   in Loop: Header=BB29_38 Depth=2
	v_add_nc_u32_e32 v36, v23, v16
	ds_load_b128 v[40:43], v31
	s_mov_b32 s25, 0
	v_ashrrev_i32_e32 v37, 31, v36
	s_delay_alu instid0(VALU_DEP_1) | instskip(NEXT) | instid1(VALU_DEP_1)
	v_lshlrev_b64_e32 v[36:37], 4, v[36:37]
	v_add_co_u32 v36, vcc_lo, s18, v36
	s_wait_alu 0xfffd
	s_delay_alu instid0(VALU_DEP_2) | instskip(SKIP_4) | instid1(VALU_DEP_2)
	v_add_co_ci_u32_e64 v37, null, s19, v37, vcc_lo
	global_load_b128 v[36:39], v[36:37], off
	s_wait_loadcnt_dscnt 0x0
	v_fma_f64 v[40:41], v[1:2], v[36:37], v[40:41]
	v_fma_f64 v[42:43], v[3:4], v[36:37], v[42:43]
	v_fma_f64 v[36:37], -v[3:4], v[38:39], v[40:41]
	s_delay_alu instid0(VALU_DEP_2)
	v_fma_f64 v[38:39], v[1:2], v[38:39], v[42:43]
	ds_store_b128 v31, v[36:39]
.LBB29_42:                              ;   in Loop: Header=BB29_38 Depth=2
	s_and_not1_b32 vcc_lo, exec_lo, s25
	s_wait_alu 0xfffe
	s_cbranch_vccnz .LBB29_44
; %bb.43:                               ;   in Loop: Header=BB29_38 Depth=2
	v_add_nc_u32_e32 v36, v22, v16
	ds_load_b128 v[40:43], v32
	v_ashrrev_i32_e32 v37, 31, v36
	s_delay_alu instid0(VALU_DEP_1) | instskip(NEXT) | instid1(VALU_DEP_1)
	v_lshlrev_b64_e32 v[36:37], 4, v[36:37]
	v_add_co_u32 v36, vcc_lo, s18, v36
	s_wait_alu 0xfffd
	s_delay_alu instid0(VALU_DEP_2) | instskip(SKIP_4) | instid1(VALU_DEP_2)
	v_add_co_ci_u32_e64 v37, null, s19, v37, vcc_lo
	global_load_b128 v[36:39], v[36:37], off
	s_wait_loadcnt_dscnt 0x0
	v_fma_f64 v[40:41], v[1:2], v[36:37], v[40:41]
	v_fma_f64 v[42:43], v[3:4], v[36:37], v[42:43]
	v_fma_f64 v[36:37], -v[3:4], v[38:39], v[40:41]
	s_delay_alu instid0(VALU_DEP_2)
	v_fma_f64 v[38:39], v[1:2], v[38:39], v[42:43]
	ds_store_b128 v32, v[36:39]
.LBB29_44:                              ;   in Loop: Header=BB29_38 Depth=2
	s_or_b32 exec_lo, exec_lo, s24
                                        ; implicit-def: $vgpr18
	s_and_not1_saveexec_b32 s23, s23
	s_branch .LBB29_46
.LBB29_45:                              ;   in Loop: Header=BB29_38 Depth=2
	s_and_not1_saveexec_b32 s23, s23
.LBB29_46:                              ;   in Loop: Header=BB29_38 Depth=2
	v_min_i32_e32 v14, v18, v14
; %bb.47:                               ;   in Loop: Header=BB29_38 Depth=2
	s_or_b32 exec_lo, exec_lo, s23
	s_mov_b32 s24, -1
                                        ; implicit-def: $vgpr18
	s_and_saveexec_b32 s23, s1
	s_cbranch_execz .LBB29_37
; %bb.48:                               ;   in Loop: Header=BB29_38 Depth=2
	v_dual_mov_b32 v15, v27 :: v_dual_add_nc_u32 v18, 1, v15
	v_add_co_u32 v24, s1, v24, 4
	v_add_nc_u32_e32 v16, s8, v16
	s_delay_alu instid0(VALU_DEP_3)
	v_cmp_ge_i32_e32 vcc_lo, v18, v27
	s_wait_alu 0xf1ff
	v_add_co_ci_u32_e64 v25, null, 0, v25, s1
	s_or_not1_b32 s24, vcc_lo, exec_lo
	s_branch .LBB29_37
.LBB29_49:                              ;   in Loop: Header=BB29_20 Depth=1
	s_or_b32 exec_lo, exec_lo, s22
	v_mov_b32_e32 v15, v36
.LBB29_50:                              ;   in Loop: Header=BB29_20 Depth=1
	s_wait_alu 0xfffe
	s_or_b32 exec_lo, exec_lo, s9
	s_wait_loadcnt_dscnt 0x0
	s_barrier_signal -1
	s_barrier_wait -1
	global_inv scope:SCOPE_SE
	ds_load_b32 v16, v29
	s_mov_b32 s1, exec_lo
	s_wait_dscnt 0x0
	v_cmpx_ne_u32_e32 0, v16
	s_cbranch_execz .LBB29_19
; %bb.51:                               ;   in Loop: Header=BB29_20 Depth=1
	v_ashrrev_i32_e32 v18, 31, v17
	v_add_nc_u32_e32 v16, s6, v35
	s_delay_alu instid0(VALU_DEP_2) | instskip(SKIP_1) | instid1(VALU_DEP_1)
	v_lshlrev_b64_e32 v[22:23], 2, v[17:18]
	s_wait_kmcnt 0x0
	v_add_co_u32 v22, vcc_lo, s12, v22
	s_wait_alu 0xfffd
	s_delay_alu instid0(VALU_DEP_2)
	v_add_co_ci_u32_e64 v23, null, s13, v23, vcc_lo
	global_store_b32 v[22:23], v16, off
	s_and_b32 exec_lo, exec_lo, s0
	s_cbranch_execz .LBB29_19
; %bb.52:                               ;   in Loop: Header=BB29_20 Depth=1
	v_mad_co_u64_u32 v[22:23], null, v17, s11, v[0:1]
	s_delay_alu instid0(VALU_DEP_1) | instskip(SKIP_2) | instid1(VALU_DEP_1)
	v_mad_co_u64_u32 v[35:36], null, v22, s11, v[21:22]
	ds_load_2addr_b64 v[22:25], v33 offset1:1
	v_ashrrev_i32_e32 v36, 31, v35
	v_lshlrev_b64_e32 v[35:36], 4, v[35:36]
	s_delay_alu instid0(VALU_DEP_1) | instskip(SKIP_1) | instid1(VALU_DEP_2)
	v_add_co_u32 v35, vcc_lo, s14, v35
	s_wait_alu 0xfffd
	v_add_co_ci_u32_e64 v36, null, s15, v36, vcc_lo
	s_wait_dscnt 0x0
	global_store_b128 v[35:36], v[22:25], off
	s_branch .LBB29_19
	.section	.rodata,"a",@progbits
	.p2align	6, 0x0
	.amdhsa_kernel _ZN9rocsparseL35bsrgeam_wf_per_row_multipass_kernelILj64ELj8E21rocsparse_complex_numIdEEEv20rocsparse_direction_iiiNS_24const_host_device_scalarIT1_EEPKiS8_PKS5_S6_S8_S8_SA_S8_PiPS5_21rocsparse_index_base_SD_SD_b
		.amdhsa_group_segment_fixed_size 1032
		.amdhsa_private_segment_fixed_size 16
		.amdhsa_kernarg_size 136
		.amdhsa_user_sgpr_count 2
		.amdhsa_user_sgpr_dispatch_ptr 0
		.amdhsa_user_sgpr_queue_ptr 0
		.amdhsa_user_sgpr_kernarg_segment_ptr 1
		.amdhsa_user_sgpr_dispatch_id 0
		.amdhsa_user_sgpr_private_segment_size 0
		.amdhsa_wavefront_size32 1
		.amdhsa_uses_dynamic_stack 0
		.amdhsa_enable_private_segment 1
		.amdhsa_system_sgpr_workgroup_id_x 1
		.amdhsa_system_sgpr_workgroup_id_y 0
		.amdhsa_system_sgpr_workgroup_id_z 0
		.amdhsa_system_sgpr_workgroup_info 0
		.amdhsa_system_vgpr_workitem_id 0
		.amdhsa_next_free_vgpr 44
		.amdhsa_next_free_sgpr 26
		.amdhsa_reserve_vcc 1
		.amdhsa_float_round_mode_32 0
		.amdhsa_float_round_mode_16_64 0
		.amdhsa_float_denorm_mode_32 3
		.amdhsa_float_denorm_mode_16_64 3
		.amdhsa_fp16_overflow 0
		.amdhsa_workgroup_processor_mode 1
		.amdhsa_memory_ordered 1
		.amdhsa_forward_progress 1
		.amdhsa_inst_pref_size 20
		.amdhsa_round_robin_scheduling 0
		.amdhsa_exception_fp_ieee_invalid_op 0
		.amdhsa_exception_fp_denorm_src 0
		.amdhsa_exception_fp_ieee_div_zero 0
		.amdhsa_exception_fp_ieee_overflow 0
		.amdhsa_exception_fp_ieee_underflow 0
		.amdhsa_exception_fp_ieee_inexact 0
		.amdhsa_exception_int_div_zero 0
	.end_amdhsa_kernel
	.section	.text._ZN9rocsparseL35bsrgeam_wf_per_row_multipass_kernelILj64ELj8E21rocsparse_complex_numIdEEEv20rocsparse_direction_iiiNS_24const_host_device_scalarIT1_EEPKiS8_PKS5_S6_S8_S8_SA_S8_PiPS5_21rocsparse_index_base_SD_SD_b,"axG",@progbits,_ZN9rocsparseL35bsrgeam_wf_per_row_multipass_kernelILj64ELj8E21rocsparse_complex_numIdEEEv20rocsparse_direction_iiiNS_24const_host_device_scalarIT1_EEPKiS8_PKS5_S6_S8_S8_SA_S8_PiPS5_21rocsparse_index_base_SD_SD_b,comdat
.Lfunc_end29:
	.size	_ZN9rocsparseL35bsrgeam_wf_per_row_multipass_kernelILj64ELj8E21rocsparse_complex_numIdEEEv20rocsparse_direction_iiiNS_24const_host_device_scalarIT1_EEPKiS8_PKS5_S6_S8_S8_SA_S8_PiPS5_21rocsparse_index_base_SD_SD_b, .Lfunc_end29-_ZN9rocsparseL35bsrgeam_wf_per_row_multipass_kernelILj64ELj8E21rocsparse_complex_numIdEEEv20rocsparse_direction_iiiNS_24const_host_device_scalarIT1_EEPKiS8_PKS5_S6_S8_S8_SA_S8_PiPS5_21rocsparse_index_base_SD_SD_b
                                        ; -- End function
	.set _ZN9rocsparseL35bsrgeam_wf_per_row_multipass_kernelILj64ELj8E21rocsparse_complex_numIdEEEv20rocsparse_direction_iiiNS_24const_host_device_scalarIT1_EEPKiS8_PKS5_S6_S8_S8_SA_S8_PiPS5_21rocsparse_index_base_SD_SD_b.num_vgpr, 44
	.set _ZN9rocsparseL35bsrgeam_wf_per_row_multipass_kernelILj64ELj8E21rocsparse_complex_numIdEEEv20rocsparse_direction_iiiNS_24const_host_device_scalarIT1_EEPKiS8_PKS5_S6_S8_S8_SA_S8_PiPS5_21rocsparse_index_base_SD_SD_b.num_agpr, 0
	.set _ZN9rocsparseL35bsrgeam_wf_per_row_multipass_kernelILj64ELj8E21rocsparse_complex_numIdEEEv20rocsparse_direction_iiiNS_24const_host_device_scalarIT1_EEPKiS8_PKS5_S6_S8_S8_SA_S8_PiPS5_21rocsparse_index_base_SD_SD_b.numbered_sgpr, 26
	.set _ZN9rocsparseL35bsrgeam_wf_per_row_multipass_kernelILj64ELj8E21rocsparse_complex_numIdEEEv20rocsparse_direction_iiiNS_24const_host_device_scalarIT1_EEPKiS8_PKS5_S6_S8_S8_SA_S8_PiPS5_21rocsparse_index_base_SD_SD_b.num_named_barrier, 0
	.set _ZN9rocsparseL35bsrgeam_wf_per_row_multipass_kernelILj64ELj8E21rocsparse_complex_numIdEEEv20rocsparse_direction_iiiNS_24const_host_device_scalarIT1_EEPKiS8_PKS5_S6_S8_S8_SA_S8_PiPS5_21rocsparse_index_base_SD_SD_b.private_seg_size, 16
	.set _ZN9rocsparseL35bsrgeam_wf_per_row_multipass_kernelILj64ELj8E21rocsparse_complex_numIdEEEv20rocsparse_direction_iiiNS_24const_host_device_scalarIT1_EEPKiS8_PKS5_S6_S8_S8_SA_S8_PiPS5_21rocsparse_index_base_SD_SD_b.uses_vcc, 1
	.set _ZN9rocsparseL35bsrgeam_wf_per_row_multipass_kernelILj64ELj8E21rocsparse_complex_numIdEEEv20rocsparse_direction_iiiNS_24const_host_device_scalarIT1_EEPKiS8_PKS5_S6_S8_S8_SA_S8_PiPS5_21rocsparse_index_base_SD_SD_b.uses_flat_scratch, 0
	.set _ZN9rocsparseL35bsrgeam_wf_per_row_multipass_kernelILj64ELj8E21rocsparse_complex_numIdEEEv20rocsparse_direction_iiiNS_24const_host_device_scalarIT1_EEPKiS8_PKS5_S6_S8_S8_SA_S8_PiPS5_21rocsparse_index_base_SD_SD_b.has_dyn_sized_stack, 0
	.set _ZN9rocsparseL35bsrgeam_wf_per_row_multipass_kernelILj64ELj8E21rocsparse_complex_numIdEEEv20rocsparse_direction_iiiNS_24const_host_device_scalarIT1_EEPKiS8_PKS5_S6_S8_S8_SA_S8_PiPS5_21rocsparse_index_base_SD_SD_b.has_recursion, 0
	.set _ZN9rocsparseL35bsrgeam_wf_per_row_multipass_kernelILj64ELj8E21rocsparse_complex_numIdEEEv20rocsparse_direction_iiiNS_24const_host_device_scalarIT1_EEPKiS8_PKS5_S6_S8_S8_SA_S8_PiPS5_21rocsparse_index_base_SD_SD_b.has_indirect_call, 0
	.section	.AMDGPU.csdata,"",@progbits
; Kernel info:
; codeLenInByte = 2540
; TotalNumSgprs: 28
; NumVgprs: 44
; ScratchSize: 16
; MemoryBound: 0
; FloatMode: 240
; IeeeMode: 1
; LDSByteSize: 1032 bytes/workgroup (compile time only)
; SGPRBlocks: 0
; VGPRBlocks: 5
; NumSGPRsForWavesPerEU: 28
; NumVGPRsForWavesPerEU: 44
; Occupancy: 16
; WaveLimiterHint : 1
; COMPUTE_PGM_RSRC2:SCRATCH_EN: 1
; COMPUTE_PGM_RSRC2:USER_SGPR: 2
; COMPUTE_PGM_RSRC2:TRAP_HANDLER: 0
; COMPUTE_PGM_RSRC2:TGID_X_EN: 1
; COMPUTE_PGM_RSRC2:TGID_Y_EN: 0
; COMPUTE_PGM_RSRC2:TGID_Z_EN: 0
; COMPUTE_PGM_RSRC2:TIDIG_COMP_CNT: 0
	.section	.text._ZN9rocsparseL39bsrgeam_block_per_row_multipass_kernel2ILj256ELj16E21rocsparse_complex_numIdEEEv20rocsparse_direction_iiiNS_24const_host_device_scalarIT1_EEPKiS8_PKS5_S6_S8_S8_SA_S8_PiPS5_21rocsparse_index_base_SD_SD_b,"axG",@progbits,_ZN9rocsparseL39bsrgeam_block_per_row_multipass_kernel2ILj256ELj16E21rocsparse_complex_numIdEEEv20rocsparse_direction_iiiNS_24const_host_device_scalarIT1_EEPKiS8_PKS5_S6_S8_S8_SA_S8_PiPS5_21rocsparse_index_base_SD_SD_b,comdat
	.globl	_ZN9rocsparseL39bsrgeam_block_per_row_multipass_kernel2ILj256ELj16E21rocsparse_complex_numIdEEEv20rocsparse_direction_iiiNS_24const_host_device_scalarIT1_EEPKiS8_PKS5_S6_S8_S8_SA_S8_PiPS5_21rocsparse_index_base_SD_SD_b ; -- Begin function _ZN9rocsparseL39bsrgeam_block_per_row_multipass_kernel2ILj256ELj16E21rocsparse_complex_numIdEEEv20rocsparse_direction_iiiNS_24const_host_device_scalarIT1_EEPKiS8_PKS5_S6_S8_S8_SA_S8_PiPS5_21rocsparse_index_base_SD_SD_b
	.p2align	8
	.type	_ZN9rocsparseL39bsrgeam_block_per_row_multipass_kernel2ILj256ELj16E21rocsparse_complex_numIdEEEv20rocsparse_direction_iiiNS_24const_host_device_scalarIT1_EEPKiS8_PKS5_S6_S8_S8_SA_S8_PiPS5_21rocsparse_index_base_SD_SD_b,@function
_ZN9rocsparseL39bsrgeam_block_per_row_multipass_kernel2ILj256ELj16E21rocsparse_complex_numIdEEEv20rocsparse_direction_iiiNS_24const_host_device_scalarIT1_EEPKiS8_PKS5_S6_S8_S8_SA_S8_PiPS5_21rocsparse_index_base_SD_SD_b: ; @_ZN9rocsparseL39bsrgeam_block_per_row_multipass_kernel2ILj256ELj16E21rocsparse_complex_numIdEEEv20rocsparse_direction_iiiNS_24const_host_device_scalarIT1_EEPKiS8_PKS5_S6_S8_S8_SA_S8_PiPS5_21rocsparse_index_base_SD_SD_b
; %bb.0:
	s_clause 0x1
	s_load_b128 s[4:7], s[0:1], 0x78
	s_load_b128 s[8:11], s[0:1], 0x10
	s_mov_b64 s[12:13], src_private_base
	s_load_b64 s[2:3], s[0:1], 0x20
	s_wait_kmcnt 0x0
	s_bitcmp1_b32 s7, 0
	v_dual_mov_b32 v1, s8 :: v_dual_mov_b32 v2, s9
	s_cselect_b32 s7, -1, 0
	v_dual_mov_b32 v12, s11 :: v_dual_mov_b32 v11, s10
	s_and_b32 vcc_lo, s7, exec_lo
	s_cselect_b32 s12, 0, s8
	s_cselect_b32 s13, s13, s9
	s_delay_alu instid0(SALU_CYCLE_1)
	v_dual_mov_b32 v3, s12 :: v_dual_mov_b32 v4, s13
	scratch_store_b64 off, v[1:2], off
	flat_load_b64 v[9:10], v[3:4]
	s_clause 0x1
	s_load_b64 s[16:17], s[0:1], 0x60
	s_load_b64 s[12:13], s[0:1], 0x48
	s_cbranch_vccnz .LBB30_2
; %bb.1:
	v_dual_mov_b32 v1, s8 :: v_dual_mov_b32 v2, s9
	flat_load_b64 v[11:12], v[1:2] offset:8
.LBB30_2:
	s_load_b64 s[10:11], s[0:1], 0x38
	s_add_nc_u64 s[14:15], s[0:1], 56
	s_and_b32 s7, s7, exec_lo
	s_mov_b32 s8, ttmp9
	s_wait_kmcnt 0x0
	s_cselect_b32 s7, s14, s10
	s_cselect_b32 s9, s15, s11
	s_wait_alu 0xfffe
	v_dual_mov_b32 v1, s7 :: v_dual_mov_b32 v2, s9
	s_ashr_i32 s9, ttmp9, 31
	s_wait_alu 0xfffe
	s_lshl_b64 s[8:9], s[8:9], 2
	flat_load_b128 v[1:4], v[1:2]
	s_wait_alu 0xfffe
	s_add_nc_u64 s[2:3], s[2:3], s[8:9]
	s_add_nc_u64 s[10:11], s[12:13], s[8:9]
	s_load_b64 s[24:25], s[2:3], 0x0
	s_clause 0x1
	s_load_b64 s[2:3], s[0:1], 0x8
	s_load_b64 s[12:13], s[0:1], 0x28
	;; [unrolled: 1-line block ×3, first 2 shown]
	s_add_nc_u64 s[20:21], s[16:17], s[8:9]
	s_wait_kmcnt 0x0
	s_mov_b32 s15, s2
	s_sub_co_i32 s14, s24, s4
	s_cmp_ge_i32 s24, s25
	s_cbranch_scc1 .LBB30_4
; %bb.3:
	s_ashr_i32 s15, s14, 31
	s_delay_alu instid0(SALU_CYCLE_1)
	s_lshl_b64 s[8:9], s[14:15], 2
	s_wait_alu 0xfffe
	s_add_nc_u64 s[8:9], s[12:13], s[8:9]
	s_load_b32 s7, s[8:9], 0x0
	s_wait_kmcnt 0x0
	s_sub_co_i32 s15, s7, s4
.LBB30_4:
	s_clause 0x2
	s_load_b64 s[16:17], s[0:1], 0x70
	s_load_b128 s[8:11], s[0:1], 0x50
	s_load_b64 s[18:19], s[0:1], 0x30
	s_load_b32 s24, s[20:21], 0x0
	s_sub_co_i32 s20, s26, s5
	s_cmp_ge_i32 s26, s27
	s_mov_b32 s21, s2
	s_cbranch_scc1 .LBB30_6
; %bb.5:
	s_ashr_i32 s21, s20, 31
	s_delay_alu instid0(SALU_CYCLE_1)
	s_lshl_b64 s[22:23], s[20:21], 2
	s_wait_kmcnt 0x0
	s_add_nc_u64 s[22:23], s[8:9], s[22:23]
	s_load_b32 s7, s[22:23], 0x0
	s_wait_kmcnt 0x0
	s_sub_co_i32 s21, s7, s5
.LBB30_6:
	s_clause 0x1
	s_load_b32 s28, s[0:1], 0x0
	s_load_b64 s[22:23], s[0:1], 0x68
	v_dual_mov_b32 v16, 0 :: v_dual_and_b32 v13, 15, v0
	v_lshrrev_b32_e32 v14, 4, v0
	s_sub_co_i32 s7, s25, s4
	s_sub_co_i32 s26, s27, s5
	s_delay_alu instid0(VALU_DEP_2)
	v_cmp_gt_u32_e32 vcc_lo, s3, v13
	v_dual_mov_b32 v6, v16 :: v_dual_lshlrev_b32 v15, 8, v13
	v_cmp_gt_i32_e64 s0, s3, v14
	s_wait_kmcnt 0x0
	s_sub_co_i32 s24, s24, s6
	s_min_i32 s25, s21, s15
	v_dual_mov_b32 v21, 1 :: v_dual_lshlrev_b32 v20, 4, v0
	v_dual_mov_b32 v5, v16 :: v_dual_mov_b32 v8, v16
	v_mov_b32_e32 v7, v16
	s_and_b32 s27, vcc_lo, s0
	v_and_or_b32 v0, 0xf0, v0, v15
	s_cmp_lg_u32 s28, 0
	s_mul_i32 s29, s3, s3
	s_cselect_b32 s28, -1, 0
	s_branch .LBB30_9
.LBB30_7:                               ;   in Loop: Header=BB30_9 Depth=1
	s_wait_alu 0xfffe
	s_or_b32 exec_lo, exec_lo, s0
.LBB30_8:                               ;   in Loop: Header=BB30_9 Depth=1
	s_wait_loadcnt 0x0
	s_wait_storecnt 0x0
	s_barrier_signal -1
	s_barrier_wait -1
	global_inv scope:SCOPE_SE
	ds_load_b32 v15, v16 offset:4096
	s_wait_alu 0xfffe
	s_mov_b32 s25, s21
	s_wait_loadcnt_dscnt 0x0
	s_barrier_signal -1
	s_barrier_wait -1
	global_inv scope:SCOPE_SE
	v_readfirstlane_b32 s0, v15
	s_add_co_i32 s24, s0, s24
	s_cmp_lt_i32 s21, s2
	s_cbranch_scc0 .LBB30_47
.LBB30_9:                               ; =>This Loop Header: Depth=1
                                        ;     Child Loop BB30_11 Depth 2
                                        ;     Child Loop BB30_27 Depth 2
	s_wait_alu 0xfffe
	s_cmp_ge_i32 s14, s7
	ds_store_b32 v16, v16 offset:4096
	ds_store_b128 v20, v[5:8]
	s_wait_storecnt 0x0
	s_wait_loadcnt_dscnt 0x0
	s_barrier_signal -1
	s_barrier_wait -1
	global_inv scope:SCOPE_SE
	s_cbranch_scc1 .LBB30_24
; %bb.10:                               ;   in Loop: Header=BB30_9 Depth=1
	s_mul_i32 s0, s3, s14
	s_ashr_i32 s15, s14, 31
	s_wait_alu 0xfffe
	v_add_nc_u32_e32 v15, s0, v14
	v_add_nc_u32_e32 v19, s0, v13
	s_lshl_b64 s[0:1], s[14:15], 2
	s_mov_b32 s21, 0
	s_wait_alu 0xfffe
	s_add_nc_u64 s[0:1], s[12:13], s[0:1]
	v_mad_co_u64_u32 v[17:18], null, s3, v15, v[13:14]
	v_mad_co_u64_u32 v[18:19], null, s3, v19, v[14:15]
	s_mov_b32 s30, s2
.LBB30_11:                              ;   Parent Loop BB30_9 Depth=1
                                        ; =>  This Inner Loop Header: Depth=2
	global_load_b32 v15, v16, s[0:1]
	s_mov_b32 s33, -1
	s_wait_loadcnt 0x0
	v_readfirstlane_b32 s15, v15
	s_sub_co_i32 s34, s15, s4
                                        ; implicit-def: $sgpr15
	s_delay_alu instid0(SALU_CYCLE_1)
	s_cmp_eq_u32 s34, s25
	s_cselect_b32 s31, -1, 0
	s_cmp_lg_u32 s34, s25
	s_cbranch_scc1 .LBB30_15
; %bb.12:                               ;   in Loop: Header=BB30_11 Depth=2
	s_and_not1_b32 vcc_lo, exec_lo, s33
	s_wait_alu 0xfffe
	s_cbranch_vccz .LBB30_16
.LBB30_13:                              ;   in Loop: Header=BB30_11 Depth=2
	s_and_not1_b32 vcc_lo, exec_lo, s31
	s_mov_b32 s30, -1
	s_wait_alu 0xfffe
	s_cbranch_vccnz .LBB30_21
.LBB30_14:                              ;   in Loop: Header=BB30_11 Depth=2
	s_add_co_i32 s14, s14, 1
	s_add_co_i32 s21, s21, s29
	s_cmp_ge_i32 s14, s7
	s_wait_alu 0xfffe
	s_add_nc_u64 s[0:1], s[0:1], 4
	s_cselect_b32 s30, -1, 0
	s_wait_alu 0xfffe
	s_and_not1_b32 vcc_lo, exec_lo, s30
	s_wait_alu 0xfffe
	s_cbranch_vccnz .LBB30_22
	s_branch .LBB30_25
.LBB30_15:                              ;   in Loop: Header=BB30_11 Depth=2
	s_wait_alu 0xfffe
	s_min_i32 s15, s34, s30
	s_cbranch_execnz .LBB30_13
.LBB30_16:                              ;   in Loop: Header=BB30_11 Depth=2
	ds_store_b32 v16, v21 offset:4096
	s_and_saveexec_b32 s15, s27
	s_cbranch_execz .LBB30_20
; %bb.17:                               ;   in Loop: Header=BB30_11 Depth=2
	s_and_b32 vcc_lo, exec_lo, s28
	s_wait_alu 0xfffe
	s_cbranch_vccz .LBB30_23
; %bb.18:                               ;   in Loop: Header=BB30_11 Depth=2
	v_add_nc_u32_e32 v15, s21, v18
	s_delay_alu instid0(VALU_DEP_1) | instskip(NEXT) | instid1(VALU_DEP_1)
	v_lshlrev_b64_e32 v[22:23], 4, v[15:16]
	v_add_co_u32 v22, vcc_lo, s18, v22
	s_wait_alu 0xfffd
	s_delay_alu instid0(VALU_DEP_2) | instskip(SKIP_4) | instid1(VALU_DEP_2)
	v_add_co_ci_u32_e64 v23, null, s19, v23, vcc_lo
	global_load_b128 v[22:25], v[22:23], off
	s_wait_loadcnt 0x0
	v_mul_f64_e64 v[26:27], v[24:25], -v[11:12]
	v_mul_f64_e32 v[28:29], v[9:10], v[24:25]
	v_fma_f64 v[24:25], v[9:10], v[22:23], v[26:27]
	s_delay_alu instid0(VALU_DEP_2)
	v_fma_f64 v[26:27], v[11:12], v[22:23], v[28:29]
	ds_store_b128 v0, v[24:27]
	s_cbranch_execnz .LBB30_20
.LBB30_19:                              ;   in Loop: Header=BB30_11 Depth=2
	v_add_nc_u32_e32 v15, s21, v17
	s_delay_alu instid0(VALU_DEP_1) | instskip(NEXT) | instid1(VALU_DEP_1)
	v_lshlrev_b64_e32 v[22:23], 4, v[15:16]
	v_add_co_u32 v22, vcc_lo, s18, v22
	s_wait_alu 0xfffd
	s_delay_alu instid0(VALU_DEP_2) | instskip(SKIP_4) | instid1(VALU_DEP_2)
	v_add_co_ci_u32_e64 v23, null, s19, v23, vcc_lo
	global_load_b128 v[22:25], v[22:23], off
	s_wait_loadcnt 0x0
	v_mul_f64_e64 v[26:27], v[24:25], -v[11:12]
	v_mul_f64_e32 v[28:29], v[9:10], v[24:25]
	v_fma_f64 v[24:25], v[9:10], v[22:23], v[26:27]
	s_delay_alu instid0(VALU_DEP_2)
	v_fma_f64 v[26:27], v[11:12], v[22:23], v[28:29]
	ds_store_b128 v20, v[24:27]
.LBB30_20:                              ;   in Loop: Header=BB30_11 Depth=2
	s_or_b32 exec_lo, exec_lo, s15
	s_mov_b32 s15, s30
	s_and_not1_b32 vcc_lo, exec_lo, s31
	s_mov_b32 s30, -1
	s_wait_alu 0xfffe
	s_cbranch_vccz .LBB30_14
.LBB30_21:                              ;   in Loop: Header=BB30_11 Depth=2
                                        ; implicit-def: $sgpr21
                                        ; implicit-def: $sgpr0_sgpr1
	s_and_not1_b32 vcc_lo, exec_lo, s30
	s_wait_alu 0xfffe
	s_cbranch_vccz .LBB30_25
.LBB30_22:                              ;   in Loop: Header=BB30_11 Depth=2
	s_mov_b32 s30, s15
	s_branch .LBB30_11
.LBB30_23:                              ;   in Loop: Header=BB30_11 Depth=2
	s_branch .LBB30_19
.LBB30_24:                              ;   in Loop: Header=BB30_9 Depth=1
	s_mov_b32 s15, s2
.LBB30_25:                              ;   in Loop: Header=BB30_9 Depth=1
	s_cmp_ge_i32 s20, s26
	s_wait_loadcnt_dscnt 0x0
	s_barrier_signal -1
	s_barrier_wait -1
	global_inv scope:SCOPE_SE
	s_cbranch_scc1 .LBB30_40
; %bb.26:                               ;   in Loop: Header=BB30_9 Depth=1
	s_mul_i32 s0, s3, s20
	s_ashr_i32 s21, s20, 31
	s_wait_alu 0xfffe
	v_add_nc_u32_e32 v15, s0, v14
	v_add_nc_u32_e32 v19, s0, v13
	s_lshl_b64 s[0:1], s[20:21], 2
	s_mov_b32 s30, 0
	s_wait_alu 0xfffe
	s_add_nc_u64 s[0:1], s[8:9], s[0:1]
	v_mad_co_u64_u32 v[17:18], null, s3, v15, v[13:14]
	v_mad_co_u64_u32 v[18:19], null, s3, v19, v[14:15]
.LBB30_27:                              ;   Parent Loop BB30_9 Depth=1
                                        ; =>  This Inner Loop Header: Depth=2
	global_load_b32 v15, v16, s[0:1]
	s_mov_b32 s33, -1
	s_wait_loadcnt 0x0
	v_readfirstlane_b32 s21, v15
	s_sub_co_i32 s34, s21, s5
                                        ; implicit-def: $sgpr21
	s_delay_alu instid0(SALU_CYCLE_1)
	s_cmp_eq_u32 s34, s25
	s_cselect_b32 s31, -1, 0
	s_cmp_lg_u32 s34, s25
	s_cbranch_scc1 .LBB30_31
; %bb.28:                               ;   in Loop: Header=BB30_27 Depth=2
	s_and_not1_b32 vcc_lo, exec_lo, s33
	s_wait_alu 0xfffe
	s_cbranch_vccz .LBB30_32
.LBB30_29:                              ;   in Loop: Header=BB30_27 Depth=2
	s_wait_alu 0xfffe
	s_and_not1_b32 vcc_lo, exec_lo, s31
	s_mov_b32 s15, -1
	s_wait_alu 0xfffe
	s_cbranch_vccnz .LBB30_37
.LBB30_30:                              ;   in Loop: Header=BB30_27 Depth=2
	s_add_co_i32 s20, s20, 1
	s_add_co_i32 s30, s30, s29
	s_wait_alu 0xfffe
	s_cmp_ge_i32 s20, s26
	s_add_nc_u64 s[0:1], s[0:1], 4
	s_cselect_b32 s15, -1, 0
	s_delay_alu instid0(SALU_CYCLE_1)
	s_and_not1_b32 vcc_lo, exec_lo, s15
	s_wait_alu 0xfffe
	s_cbranch_vccnz .LBB30_38
	s_branch .LBB30_41
.LBB30_31:                              ;   in Loop: Header=BB30_27 Depth=2
	s_min_i32 s21, s34, s15
	s_cbranch_execnz .LBB30_29
.LBB30_32:                              ;   in Loop: Header=BB30_27 Depth=2
	ds_store_b32 v16, v21 offset:4096
	s_and_saveexec_b32 s21, s27
	s_cbranch_execz .LBB30_36
; %bb.33:                               ;   in Loop: Header=BB30_27 Depth=2
	s_and_b32 vcc_lo, exec_lo, s28
	s_wait_alu 0xfffe
	s_cbranch_vccz .LBB30_39
; %bb.34:                               ;   in Loop: Header=BB30_27 Depth=2
	v_add_nc_u32_e32 v15, s30, v18
	ds_load_b128 v[26:29], v0
	v_lshlrev_b64_e32 v[22:23], 4, v[15:16]
	s_delay_alu instid0(VALU_DEP_1) | instskip(SKIP_1) | instid1(VALU_DEP_2)
	v_add_co_u32 v22, vcc_lo, s10, v22
	s_wait_alu 0xfffd
	v_add_co_ci_u32_e64 v23, null, s11, v23, vcc_lo
	global_load_b128 v[22:25], v[22:23], off
	s_wait_loadcnt_dscnt 0x0
	v_fma_f64 v[26:27], v[1:2], v[22:23], v[26:27]
	v_fma_f64 v[28:29], v[3:4], v[22:23], v[28:29]
	s_delay_alu instid0(VALU_DEP_2) | instskip(NEXT) | instid1(VALU_DEP_2)
	v_fma_f64 v[22:23], -v[3:4], v[24:25], v[26:27]
	v_fma_f64 v[24:25], v[1:2], v[24:25], v[28:29]
	ds_store_b128 v0, v[22:25]
	s_cbranch_execnz .LBB30_36
.LBB30_35:                              ;   in Loop: Header=BB30_27 Depth=2
	v_add_nc_u32_e32 v15, s30, v17
	ds_load_b128 v[26:29], v20
	v_lshlrev_b64_e32 v[22:23], 4, v[15:16]
	s_delay_alu instid0(VALU_DEP_1) | instskip(SKIP_1) | instid1(VALU_DEP_2)
	v_add_co_u32 v22, vcc_lo, s10, v22
	s_wait_alu 0xfffd
	v_add_co_ci_u32_e64 v23, null, s11, v23, vcc_lo
	global_load_b128 v[22:25], v[22:23], off
	s_wait_loadcnt_dscnt 0x0
	v_fma_f64 v[26:27], v[1:2], v[22:23], v[26:27]
	v_fma_f64 v[28:29], v[3:4], v[22:23], v[28:29]
	s_delay_alu instid0(VALU_DEP_2) | instskip(NEXT) | instid1(VALU_DEP_2)
	v_fma_f64 v[22:23], -v[3:4], v[24:25], v[26:27]
	v_fma_f64 v[24:25], v[1:2], v[24:25], v[28:29]
	ds_store_b128 v20, v[22:25]
.LBB30_36:                              ;   in Loop: Header=BB30_27 Depth=2
	s_wait_alu 0xfffe
	s_or_b32 exec_lo, exec_lo, s21
	s_mov_b32 s21, s15
	s_and_not1_b32 vcc_lo, exec_lo, s31
	s_mov_b32 s15, -1
	s_wait_alu 0xfffe
	s_cbranch_vccz .LBB30_30
.LBB30_37:                              ;   in Loop: Header=BB30_27 Depth=2
                                        ; implicit-def: $sgpr30
                                        ; implicit-def: $sgpr0_sgpr1
	s_and_not1_b32 vcc_lo, exec_lo, s15
	s_wait_alu 0xfffe
	s_cbranch_vccz .LBB30_41
.LBB30_38:                              ;   in Loop: Header=BB30_27 Depth=2
	s_mov_b32 s15, s21
	s_branch .LBB30_27
.LBB30_39:                              ;   in Loop: Header=BB30_27 Depth=2
	s_branch .LBB30_35
.LBB30_40:                              ;   in Loop: Header=BB30_9 Depth=1
	s_mov_b32 s21, s15
.LBB30_41:                              ;   in Loop: Header=BB30_9 Depth=1
	s_wait_loadcnt_dscnt 0x0
	s_barrier_signal -1
	s_barrier_wait -1
	global_inv scope:SCOPE_SE
	ds_load_b32 v15, v16 offset:4096
	s_wait_dscnt 0x0
	v_cmp_eq_u32_e32 vcc_lo, 0, v15
	s_cbranch_vccnz .LBB30_8
; %bb.42:                               ;   in Loop: Header=BB30_9 Depth=1
	s_add_co_i32 s0, s25, s6
	s_ashr_i32 s25, s24, 31
	s_wait_alu 0xfffe
	v_mov_b32_e32 v15, s0
	s_lshl_b64 s[0:1], s[24:25], 2
	s_wait_alu 0xfffe
	s_add_nc_u64 s[0:1], s[22:23], s[0:1]
	global_store_b32 v16, v15, s[0:1]
	s_and_saveexec_b32 s0, s27
	s_cbranch_execz .LBB30_7
; %bb.43:                               ;   in Loop: Header=BB30_9 Depth=1
	s_and_b32 vcc_lo, exec_lo, s28
	s_mul_i32 s1, s24, s3
	s_wait_alu 0xfffe
	s_cbranch_vccz .LBB30_45
; %bb.44:                               ;   in Loop: Header=BB30_9 Depth=1
	v_add_nc_u32_e32 v15, s1, v13
	ds_load_2addr_b64 v[22:25], v0 offset1:1
	v_mad_co_u64_u32 v[17:18], null, v15, s3, v[14:15]
	v_mov_b32_e32 v18, v16
	s_delay_alu instid0(VALU_DEP_1) | instskip(NEXT) | instid1(VALU_DEP_1)
	v_lshlrev_b64_e32 v[17:18], 4, v[17:18]
	v_add_co_u32 v17, vcc_lo, s16, v17
	s_wait_alu 0xfffd
	s_delay_alu instid0(VALU_DEP_2)
	v_add_co_ci_u32_e64 v18, null, s17, v18, vcc_lo
	s_wait_dscnt 0x0
	global_store_b128 v[17:18], v[22:25], off
	s_cbranch_execnz .LBB30_7
	s_branch .LBB30_46
.LBB30_45:                              ;   in Loop: Header=BB30_9 Depth=1
.LBB30_46:                              ;   in Loop: Header=BB30_9 Depth=1
	v_add_nc_u32_e32 v15, s1, v14
	ds_load_2addr_b64 v[22:25], v20 offset1:1
	v_mad_co_u64_u32 v[17:18], null, v15, s3, v[13:14]
	v_mov_b32_e32 v18, v16
	s_delay_alu instid0(VALU_DEP_1) | instskip(NEXT) | instid1(VALU_DEP_1)
	v_lshlrev_b64_e32 v[17:18], 4, v[17:18]
	v_add_co_u32 v17, vcc_lo, s16, v17
	s_wait_alu 0xfffd
	s_delay_alu instid0(VALU_DEP_2)
	v_add_co_ci_u32_e64 v18, null, s17, v18, vcc_lo
	s_wait_dscnt 0x0
	global_store_b128 v[17:18], v[22:25], off
	s_branch .LBB30_7
.LBB30_47:
	s_endpgm
	.section	.rodata,"a",@progbits
	.p2align	6, 0x0
	.amdhsa_kernel _ZN9rocsparseL39bsrgeam_block_per_row_multipass_kernel2ILj256ELj16E21rocsparse_complex_numIdEEEv20rocsparse_direction_iiiNS_24const_host_device_scalarIT1_EEPKiS8_PKS5_S6_S8_S8_SA_S8_PiPS5_21rocsparse_index_base_SD_SD_b
		.amdhsa_group_segment_fixed_size 4104
		.amdhsa_private_segment_fixed_size 16
		.amdhsa_kernarg_size 136
		.amdhsa_user_sgpr_count 2
		.amdhsa_user_sgpr_dispatch_ptr 0
		.amdhsa_user_sgpr_queue_ptr 0
		.amdhsa_user_sgpr_kernarg_segment_ptr 1
		.amdhsa_user_sgpr_dispatch_id 0
		.amdhsa_user_sgpr_private_segment_size 0
		.amdhsa_wavefront_size32 1
		.amdhsa_uses_dynamic_stack 0
		.amdhsa_enable_private_segment 1
		.amdhsa_system_sgpr_workgroup_id_x 1
		.amdhsa_system_sgpr_workgroup_id_y 0
		.amdhsa_system_sgpr_workgroup_id_z 0
		.amdhsa_system_sgpr_workgroup_info 0
		.amdhsa_system_vgpr_workitem_id 0
		.amdhsa_next_free_vgpr 30
		.amdhsa_next_free_sgpr 35
		.amdhsa_reserve_vcc 1
		.amdhsa_float_round_mode_32 0
		.amdhsa_float_round_mode_16_64 0
		.amdhsa_float_denorm_mode_32 3
		.amdhsa_float_denorm_mode_16_64 3
		.amdhsa_fp16_overflow 0
		.amdhsa_workgroup_processor_mode 1
		.amdhsa_memory_ordered 1
		.amdhsa_forward_progress 1
		.amdhsa_inst_pref_size 15
		.amdhsa_round_robin_scheduling 0
		.amdhsa_exception_fp_ieee_invalid_op 0
		.amdhsa_exception_fp_denorm_src 0
		.amdhsa_exception_fp_ieee_div_zero 0
		.amdhsa_exception_fp_ieee_overflow 0
		.amdhsa_exception_fp_ieee_underflow 0
		.amdhsa_exception_fp_ieee_inexact 0
		.amdhsa_exception_int_div_zero 0
	.end_amdhsa_kernel
	.section	.text._ZN9rocsparseL39bsrgeam_block_per_row_multipass_kernel2ILj256ELj16E21rocsparse_complex_numIdEEEv20rocsparse_direction_iiiNS_24const_host_device_scalarIT1_EEPKiS8_PKS5_S6_S8_S8_SA_S8_PiPS5_21rocsparse_index_base_SD_SD_b,"axG",@progbits,_ZN9rocsparseL39bsrgeam_block_per_row_multipass_kernel2ILj256ELj16E21rocsparse_complex_numIdEEEv20rocsparse_direction_iiiNS_24const_host_device_scalarIT1_EEPKiS8_PKS5_S6_S8_S8_SA_S8_PiPS5_21rocsparse_index_base_SD_SD_b,comdat
.Lfunc_end30:
	.size	_ZN9rocsparseL39bsrgeam_block_per_row_multipass_kernel2ILj256ELj16E21rocsparse_complex_numIdEEEv20rocsparse_direction_iiiNS_24const_host_device_scalarIT1_EEPKiS8_PKS5_S6_S8_S8_SA_S8_PiPS5_21rocsparse_index_base_SD_SD_b, .Lfunc_end30-_ZN9rocsparseL39bsrgeam_block_per_row_multipass_kernel2ILj256ELj16E21rocsparse_complex_numIdEEEv20rocsparse_direction_iiiNS_24const_host_device_scalarIT1_EEPKiS8_PKS5_S6_S8_S8_SA_S8_PiPS5_21rocsparse_index_base_SD_SD_b
                                        ; -- End function
	.set _ZN9rocsparseL39bsrgeam_block_per_row_multipass_kernel2ILj256ELj16E21rocsparse_complex_numIdEEEv20rocsparse_direction_iiiNS_24const_host_device_scalarIT1_EEPKiS8_PKS5_S6_S8_S8_SA_S8_PiPS5_21rocsparse_index_base_SD_SD_b.num_vgpr, 30
	.set _ZN9rocsparseL39bsrgeam_block_per_row_multipass_kernel2ILj256ELj16E21rocsparse_complex_numIdEEEv20rocsparse_direction_iiiNS_24const_host_device_scalarIT1_EEPKiS8_PKS5_S6_S8_S8_SA_S8_PiPS5_21rocsparse_index_base_SD_SD_b.num_agpr, 0
	.set _ZN9rocsparseL39bsrgeam_block_per_row_multipass_kernel2ILj256ELj16E21rocsparse_complex_numIdEEEv20rocsparse_direction_iiiNS_24const_host_device_scalarIT1_EEPKiS8_PKS5_S6_S8_S8_SA_S8_PiPS5_21rocsparse_index_base_SD_SD_b.numbered_sgpr, 35
	.set _ZN9rocsparseL39bsrgeam_block_per_row_multipass_kernel2ILj256ELj16E21rocsparse_complex_numIdEEEv20rocsparse_direction_iiiNS_24const_host_device_scalarIT1_EEPKiS8_PKS5_S6_S8_S8_SA_S8_PiPS5_21rocsparse_index_base_SD_SD_b.num_named_barrier, 0
	.set _ZN9rocsparseL39bsrgeam_block_per_row_multipass_kernel2ILj256ELj16E21rocsparse_complex_numIdEEEv20rocsparse_direction_iiiNS_24const_host_device_scalarIT1_EEPKiS8_PKS5_S6_S8_S8_SA_S8_PiPS5_21rocsparse_index_base_SD_SD_b.private_seg_size, 16
	.set _ZN9rocsparseL39bsrgeam_block_per_row_multipass_kernel2ILj256ELj16E21rocsparse_complex_numIdEEEv20rocsparse_direction_iiiNS_24const_host_device_scalarIT1_EEPKiS8_PKS5_S6_S8_S8_SA_S8_PiPS5_21rocsparse_index_base_SD_SD_b.uses_vcc, 1
	.set _ZN9rocsparseL39bsrgeam_block_per_row_multipass_kernel2ILj256ELj16E21rocsparse_complex_numIdEEEv20rocsparse_direction_iiiNS_24const_host_device_scalarIT1_EEPKiS8_PKS5_S6_S8_S8_SA_S8_PiPS5_21rocsparse_index_base_SD_SD_b.uses_flat_scratch, 0
	.set _ZN9rocsparseL39bsrgeam_block_per_row_multipass_kernel2ILj256ELj16E21rocsparse_complex_numIdEEEv20rocsparse_direction_iiiNS_24const_host_device_scalarIT1_EEPKiS8_PKS5_S6_S8_S8_SA_S8_PiPS5_21rocsparse_index_base_SD_SD_b.has_dyn_sized_stack, 0
	.set _ZN9rocsparseL39bsrgeam_block_per_row_multipass_kernel2ILj256ELj16E21rocsparse_complex_numIdEEEv20rocsparse_direction_iiiNS_24const_host_device_scalarIT1_EEPKiS8_PKS5_S6_S8_S8_SA_S8_PiPS5_21rocsparse_index_base_SD_SD_b.has_recursion, 0
	.set _ZN9rocsparseL39bsrgeam_block_per_row_multipass_kernel2ILj256ELj16E21rocsparse_complex_numIdEEEv20rocsparse_direction_iiiNS_24const_host_device_scalarIT1_EEPKiS8_PKS5_S6_S8_S8_SA_S8_PiPS5_21rocsparse_index_base_SD_SD_b.has_indirect_call, 0
	.section	.AMDGPU.csdata,"",@progbits
; Kernel info:
; codeLenInByte = 1920
; TotalNumSgprs: 37
; NumVgprs: 30
; ScratchSize: 16
; MemoryBound: 0
; FloatMode: 240
; IeeeMode: 1
; LDSByteSize: 4104 bytes/workgroup (compile time only)
; SGPRBlocks: 0
; VGPRBlocks: 3
; NumSGPRsForWavesPerEU: 37
; NumVGPRsForWavesPerEU: 30
; Occupancy: 16
; WaveLimiterHint : 1
; COMPUTE_PGM_RSRC2:SCRATCH_EN: 1
; COMPUTE_PGM_RSRC2:USER_SGPR: 2
; COMPUTE_PGM_RSRC2:TRAP_HANDLER: 0
; COMPUTE_PGM_RSRC2:TGID_X_EN: 1
; COMPUTE_PGM_RSRC2:TGID_Y_EN: 0
; COMPUTE_PGM_RSRC2:TGID_Z_EN: 0
; COMPUTE_PGM_RSRC2:TIDIG_COMP_CNT: 0
	.section	.text._ZN9rocsparseL39bsrgeam_block_per_row_multipass_kernel2ILj256ELj32E21rocsparse_complex_numIdEEEv20rocsparse_direction_iiiNS_24const_host_device_scalarIT1_EEPKiS8_PKS5_S6_S8_S8_SA_S8_PiPS5_21rocsparse_index_base_SD_SD_b,"axG",@progbits,_ZN9rocsparseL39bsrgeam_block_per_row_multipass_kernel2ILj256ELj32E21rocsparse_complex_numIdEEEv20rocsparse_direction_iiiNS_24const_host_device_scalarIT1_EEPKiS8_PKS5_S6_S8_S8_SA_S8_PiPS5_21rocsparse_index_base_SD_SD_b,comdat
	.globl	_ZN9rocsparseL39bsrgeam_block_per_row_multipass_kernel2ILj256ELj32E21rocsparse_complex_numIdEEEv20rocsparse_direction_iiiNS_24const_host_device_scalarIT1_EEPKiS8_PKS5_S6_S8_S8_SA_S8_PiPS5_21rocsparse_index_base_SD_SD_b ; -- Begin function _ZN9rocsparseL39bsrgeam_block_per_row_multipass_kernel2ILj256ELj32E21rocsparse_complex_numIdEEEv20rocsparse_direction_iiiNS_24const_host_device_scalarIT1_EEPKiS8_PKS5_S6_S8_S8_SA_S8_PiPS5_21rocsparse_index_base_SD_SD_b
	.p2align	8
	.type	_ZN9rocsparseL39bsrgeam_block_per_row_multipass_kernel2ILj256ELj32E21rocsparse_complex_numIdEEEv20rocsparse_direction_iiiNS_24const_host_device_scalarIT1_EEPKiS8_PKS5_S6_S8_S8_SA_S8_PiPS5_21rocsparse_index_base_SD_SD_b,@function
_ZN9rocsparseL39bsrgeam_block_per_row_multipass_kernel2ILj256ELj32E21rocsparse_complex_numIdEEEv20rocsparse_direction_iiiNS_24const_host_device_scalarIT1_EEPKiS8_PKS5_S6_S8_S8_SA_S8_PiPS5_21rocsparse_index_base_SD_SD_b: ; @_ZN9rocsparseL39bsrgeam_block_per_row_multipass_kernel2ILj256ELj32E21rocsparse_complex_numIdEEEv20rocsparse_direction_iiiNS_24const_host_device_scalarIT1_EEPKiS8_PKS5_S6_S8_S8_SA_S8_PiPS5_21rocsparse_index_base_SD_SD_b
; %bb.0:
	s_clause 0x1
	s_load_b128 s[4:7], s[0:1], 0x78
	s_load_b128 s[8:11], s[0:1], 0x10
	s_mov_b64 s[12:13], src_private_base
	s_load_b64 s[2:3], s[0:1], 0x20
	s_wait_kmcnt 0x0
	s_bitcmp1_b32 s7, 0
	v_dual_mov_b32 v1, s8 :: v_dual_mov_b32 v2, s9
	s_cselect_b32 s7, -1, 0
	v_dual_mov_b32 v12, s11 :: v_dual_mov_b32 v11, s10
	s_and_b32 vcc_lo, s7, exec_lo
	s_cselect_b32 s12, 0, s8
	s_cselect_b32 s13, s13, s9
	s_delay_alu instid0(SALU_CYCLE_1)
	v_dual_mov_b32 v3, s12 :: v_dual_mov_b32 v4, s13
	scratch_store_b64 off, v[1:2], off
	flat_load_b64 v[9:10], v[3:4]
	s_clause 0x1
	s_load_b64 s[16:17], s[0:1], 0x60
	s_load_b64 s[12:13], s[0:1], 0x48
	s_cbranch_vccnz .LBB31_2
; %bb.1:
	v_dual_mov_b32 v1, s8 :: v_dual_mov_b32 v2, s9
	flat_load_b64 v[11:12], v[1:2] offset:8
.LBB31_2:
	s_load_b64 s[10:11], s[0:1], 0x38
	s_add_nc_u64 s[14:15], s[0:1], 56
	s_and_b32 s7, s7, exec_lo
	s_mov_b32 s8, ttmp9
	s_wait_kmcnt 0x0
	s_cselect_b32 s7, s14, s10
	s_cselect_b32 s9, s15, s11
	s_wait_alu 0xfffe
	v_dual_mov_b32 v1, s7 :: v_dual_mov_b32 v2, s9
	s_ashr_i32 s9, ttmp9, 31
	s_wait_alu 0xfffe
	s_lshl_b64 s[8:9], s[8:9], 2
	flat_load_b128 v[1:4], v[1:2]
	s_wait_alu 0xfffe
	s_add_nc_u64 s[2:3], s[2:3], s[8:9]
	s_add_nc_u64 s[10:11], s[12:13], s[8:9]
	s_load_b64 s[24:25], s[2:3], 0x0
	s_clause 0x1
	s_load_b64 s[2:3], s[0:1], 0x8
	s_load_b64 s[12:13], s[0:1], 0x28
	s_load_b64 s[26:27], s[10:11], 0x0
	s_add_nc_u64 s[20:21], s[16:17], s[8:9]
	s_wait_kmcnt 0x0
	s_mov_b32 s15, s2
	s_sub_co_i32 s14, s24, s4
	s_cmp_ge_i32 s24, s25
	s_cbranch_scc1 .LBB31_4
; %bb.3:
	s_ashr_i32 s15, s14, 31
	s_delay_alu instid0(SALU_CYCLE_1)
	s_lshl_b64 s[8:9], s[14:15], 2
	s_wait_alu 0xfffe
	s_add_nc_u64 s[8:9], s[12:13], s[8:9]
	s_load_b32 s7, s[8:9], 0x0
	s_wait_kmcnt 0x0
	s_sub_co_i32 s15, s7, s4
.LBB31_4:
	s_clause 0x2
	s_load_b64 s[16:17], s[0:1], 0x70
	s_load_b128 s[8:11], s[0:1], 0x50
	s_load_b64 s[18:19], s[0:1], 0x30
	s_load_b32 s24, s[20:21], 0x0
	s_sub_co_i32 s20, s26, s5
	s_cmp_ge_i32 s26, s27
	s_mov_b32 s21, s2
	s_cbranch_scc1 .LBB31_6
; %bb.5:
	s_ashr_i32 s21, s20, 31
	s_delay_alu instid0(SALU_CYCLE_1)
	s_lshl_b64 s[22:23], s[20:21], 2
	s_wait_kmcnt 0x0
	s_add_nc_u64 s[22:23], s[8:9], s[22:23]
	s_load_b32 s7, s[22:23], 0x0
	s_wait_kmcnt 0x0
	s_sub_co_i32 s21, s7, s5
.LBB31_6:
	s_clause 0x1
	s_load_b32 s28, s[0:1], 0x0
	s_load_b64 s[22:23], s[0:1], 0x68
	v_lshrrev_b32_e32 v13, 3, v0
	v_dual_mov_b32 v15, 0 :: v_dual_and_b32 v0, 7, v0
	s_mov_b32 s36, 0
	s_sub_co_i32 s7, s25, s4
	s_mov_b32 s37, s36
	s_delay_alu instid0(VALU_DEP_1)
	v_or_b32_e32 v22, 8, v0
	s_mov_b32 s38, s36
	s_mov_b32 s39, s36
	v_lshlrev_b32_e32 v5, 9, v13
	v_cmp_gt_i32_e32 vcc_lo, s3, v13
	v_cmp_gt_u32_e64 s0, s3, v0
	v_or_b32_e32 v24, 16, v0
	v_cmp_gt_u32_e64 s1, s3, v22
	v_or_b32_e32 v29, 24, v0
	v_lshl_or_b32 v23, v0, 4, v5
	v_mad_i32_i24 v5, 0xfffffe10, v13, v5
	s_sub_co_i32 s26, s27, s5
	s_wait_kmcnt 0x0
	s_sub_co_i32 s24, s24, s6
	s_min_i32 s25, s21, s15
	s_cmp_lg_u32 s28, 0
	v_lshl_add_u32 v28, v0, 9, v5
	s_cselect_b32 s27, -1, 0
	s_and_b32 s28, vcc_lo, s0
	s_and_b32 s29, vcc_lo, s1
	v_cmp_gt_u32_e64 s0, s3, v24
	v_cmp_gt_u32_e64 s1, s3, v29
	v_lshl_add_u32 v30, v22, 9, v5
	v_lshl_add_u32 v31, v24, 9, v5
	;; [unrolled: 1-line block ×3, first 2 shown]
	v_dual_mov_b32 v5, s36 :: v_dual_mov_b32 v8, s39
	v_or_b32_e32 v25, 0x80, v23
	v_or_b32_e32 v26, 0x100, v23
	;; [unrolled: 1-line block ×3, first 2 shown]
	v_dual_mov_b32 v6, s37 :: v_dual_mov_b32 v7, s38
	v_mov_b32_e32 v33, 1
	s_and_b32 s30, vcc_lo, s0
	s_and_b32 s31, vcc_lo, s1
	s_mul_i32 s33, s3, s3
	s_branch .LBB31_10
.LBB31_7:                               ;   in Loop: Header=BB31_10 Depth=1
	ds_load_2addr_b64 v[16:19], v17 offset1:1
	v_lshlrev_b64_e32 v[20:21], 4, v[14:15]
	s_delay_alu instid0(VALU_DEP_1) | instskip(SKIP_1) | instid1(VALU_DEP_2)
	v_add_co_u32 v20, vcc_lo, s16, v20
	s_wait_alu 0xfffd
	v_add_co_ci_u32_e64 v21, null, s17, v21, vcc_lo
	s_wait_dscnt 0x0
	global_store_b128 v[20:21], v[16:19], off
.LBB31_8:                               ;   in Loop: Header=BB31_10 Depth=1
	s_wait_alu 0xfffe
	s_or_b32 exec_lo, exec_lo, s1
.LBB31_9:                               ;   in Loop: Header=BB31_10 Depth=1
	s_wait_loadcnt 0x0
	s_wait_storecnt 0x0
	s_barrier_signal -1
	s_barrier_wait -1
	global_inv scope:SCOPE_SE
	ds_load_b32 v14, v15 offset:16384
	s_mov_b32 s25, s35
	s_wait_loadcnt_dscnt 0x0
	s_barrier_signal -1
	s_barrier_wait -1
	global_inv scope:SCOPE_SE
	v_readfirstlane_b32 s0, v14
	s_add_co_i32 s24, s0, s24
	s_cmp_lt_i32 s35, s2
	s_cbranch_scc0 .LBB31_96
.LBB31_10:                              ; =>This Loop Header: Depth=1
                                        ;     Child Loop BB31_12 Depth 2
                                        ;     Child Loop BB31_43 Depth 2
	s_wait_alu 0xfffe
	s_cmp_ge_i32 s14, s7
	ds_store_b32 v15, v15 offset:16384
	ds_store_b128 v23, v[5:8]
	ds_store_b128 v23, v[5:8] offset:128
	ds_store_b128 v23, v[5:8] offset:256
	;; [unrolled: 1-line block ×3, first 2 shown]
	s_wait_storecnt 0x0
	s_wait_loadcnt_dscnt 0x0
	s_barrier_signal -1
	s_barrier_wait -1
	global_inv scope:SCOPE_SE
	s_cbranch_scc1 .LBB31_40
; %bb.11:                               ;   in Loop: Header=BB31_10 Depth=1
	s_mul_i32 s0, s3, s14
	s_ashr_i32 s15, s14, 31
	s_wait_alu 0xfffe
	v_add_nc_u32_e32 v14, s0, v0
	v_add_nc_u32_e32 v18, s0, v22
	;; [unrolled: 1-line block ×4, first 2 shown]
	s_mov_b32 s21, 0
	v_mad_co_u64_u32 v[16:17], null, s3, v14, v[13:14]
	v_mad_co_u64_u32 v[17:18], null, s3, v18, v[13:14]
	v_add_nc_u32_e32 v14, s0, v29
	s_lshl_b64 s[0:1], s[14:15], 2
	s_mov_b32 s34, s2
	s_wait_alu 0xfffe
	s_add_nc_u64 s[0:1], s[12:13], s[0:1]
	v_mad_co_u64_u32 v[18:19], null, s3, v19, v[13:14]
	v_mad_co_u64_u32 v[19:20], null, s3, v14, v[13:14]
	;; [unrolled: 1-line block ×3, first 2 shown]
.LBB31_12:                              ;   Parent Loop BB31_10 Depth=1
                                        ; =>  This Inner Loop Header: Depth=2
	global_load_b32 v14, v15, s[0:1]
	s_mov_b32 s36, -1
	s_wait_loadcnt 0x0
	v_readfirstlane_b32 s15, v14
	s_sub_co_i32 s37, s15, s4
                                        ; implicit-def: $sgpr15
	s_wait_alu 0xfffe
	s_cmp_eq_u32 s37, s25
	s_cselect_b32 s35, -1, 0
	s_cmp_lg_u32 s37, s25
	s_cbranch_scc1 .LBB31_16
; %bb.13:                               ;   in Loop: Header=BB31_12 Depth=2
	s_and_not1_b32 vcc_lo, exec_lo, s36
	s_wait_alu 0xfffe
	s_cbranch_vccz .LBB31_17
.LBB31_14:                              ;   in Loop: Header=BB31_12 Depth=2
	s_and_not1_b32 vcc_lo, exec_lo, s35
	s_mov_b32 s34, -1
	s_wait_alu 0xfffe
	s_cbranch_vccnz .LBB31_34
.LBB31_15:                              ;   in Loop: Header=BB31_12 Depth=2
	s_add_co_i32 s14, s14, 1
	s_add_co_i32 s21, s21, s33
	s_cmp_ge_i32 s14, s7
	s_add_nc_u64 s[0:1], s[0:1], 4
	s_cselect_b32 s34, -1, 0
	s_delay_alu instid0(SALU_CYCLE_1)
	s_and_not1_b32 vcc_lo, exec_lo, s34
	s_wait_alu 0xfffe
	s_cbranch_vccnz .LBB31_35
	s_branch .LBB31_41
.LBB31_16:                              ;   in Loop: Header=BB31_12 Depth=2
	s_min_i32 s15, s37, s34
	s_cbranch_execnz .LBB31_14
.LBB31_17:                              ;   in Loop: Header=BB31_12 Depth=2
	ds_store_b32 v15, v33 offset:16384
	s_and_saveexec_b32 s15, s28
	s_cbranch_execz .LBB31_21
; %bb.18:                               ;   in Loop: Header=BB31_12 Depth=2
	s_and_b32 vcc_lo, exec_lo, s27
	s_wait_alu 0xfffe
	s_cbranch_vccz .LBB31_36
; %bb.19:                               ;   in Loop: Header=BB31_12 Depth=2
	v_add_nc_u32_e32 v14, s21, v16
	s_delay_alu instid0(VALU_DEP_1) | instskip(NEXT) | instid1(VALU_DEP_1)
	v_lshlrev_b64_e32 v[34:35], 4, v[14:15]
	v_add_co_u32 v34, vcc_lo, s18, v34
	s_wait_alu 0xfffd
	s_delay_alu instid0(VALU_DEP_2) | instskip(SKIP_4) | instid1(VALU_DEP_2)
	v_add_co_ci_u32_e64 v35, null, s19, v35, vcc_lo
	global_load_b128 v[34:37], v[34:35], off
	s_wait_loadcnt 0x0
	v_mul_f64_e64 v[38:39], v[36:37], -v[11:12]
	v_mul_f64_e32 v[40:41], v[9:10], v[36:37]
	v_fma_f64 v[36:37], v[9:10], v[34:35], v[38:39]
	s_delay_alu instid0(VALU_DEP_2)
	v_fma_f64 v[38:39], v[11:12], v[34:35], v[40:41]
	ds_store_b128 v28, v[36:39]
	s_cbranch_execnz .LBB31_21
.LBB31_20:                              ;   in Loop: Header=BB31_12 Depth=2
	v_add_nc_u32_e32 v14, s21, v20
	s_delay_alu instid0(VALU_DEP_1) | instskip(NEXT) | instid1(VALU_DEP_1)
	v_lshlrev_b64_e32 v[34:35], 4, v[14:15]
	v_add_co_u32 v34, vcc_lo, s18, v34
	s_wait_alu 0xfffd
	s_delay_alu instid0(VALU_DEP_2) | instskip(SKIP_4) | instid1(VALU_DEP_2)
	v_add_co_ci_u32_e64 v35, null, s19, v35, vcc_lo
	global_load_b128 v[34:37], v[34:35], off
	s_wait_loadcnt 0x0
	v_mul_f64_e64 v[38:39], v[36:37], -v[11:12]
	v_mul_f64_e32 v[40:41], v[9:10], v[36:37]
	v_fma_f64 v[36:37], v[9:10], v[34:35], v[38:39]
	s_delay_alu instid0(VALU_DEP_2)
	v_fma_f64 v[38:39], v[11:12], v[34:35], v[40:41]
	ds_store_b128 v23, v[36:39]
.LBB31_21:                              ;   in Loop: Header=BB31_12 Depth=2
	s_or_b32 exec_lo, exec_lo, s15
	s_and_saveexec_b32 s15, s29
	s_cbranch_execz .LBB31_25
; %bb.22:                               ;   in Loop: Header=BB31_12 Depth=2
	s_and_not1_b32 vcc_lo, exec_lo, s27
	s_wait_alu 0xfffe
	s_cbranch_vccnz .LBB31_37
; %bb.23:                               ;   in Loop: Header=BB31_12 Depth=2
	v_add_nc_u32_e32 v14, s21, v17
	s_delay_alu instid0(VALU_DEP_1) | instskip(NEXT) | instid1(VALU_DEP_1)
	v_lshlrev_b64_e32 v[34:35], 4, v[14:15]
	v_add_co_u32 v34, vcc_lo, s18, v34
	s_wait_alu 0xfffd
	s_delay_alu instid0(VALU_DEP_2) | instskip(SKIP_4) | instid1(VALU_DEP_2)
	v_add_co_ci_u32_e64 v35, null, s19, v35, vcc_lo
	global_load_b128 v[34:37], v[34:35], off
	s_wait_loadcnt 0x0
	v_mul_f64_e64 v[38:39], v[36:37], -v[11:12]
	v_mul_f64_e32 v[40:41], v[9:10], v[36:37]
	v_fma_f64 v[36:37], v[9:10], v[34:35], v[38:39]
	s_delay_alu instid0(VALU_DEP_2)
	v_fma_f64 v[38:39], v[11:12], v[34:35], v[40:41]
	ds_store_b128 v30, v[36:39]
	s_cbranch_execnz .LBB31_25
.LBB31_24:                              ;   in Loop: Header=BB31_12 Depth=2
	v_add3_u32 v14, v20, s21, 8
	s_delay_alu instid0(VALU_DEP_1) | instskip(NEXT) | instid1(VALU_DEP_1)
	v_lshlrev_b64_e32 v[34:35], 4, v[14:15]
	v_add_co_u32 v34, vcc_lo, s18, v34
	s_wait_alu 0xfffd
	s_delay_alu instid0(VALU_DEP_2) | instskip(SKIP_4) | instid1(VALU_DEP_2)
	v_add_co_ci_u32_e64 v35, null, s19, v35, vcc_lo
	global_load_b128 v[34:37], v[34:35], off
	s_wait_loadcnt 0x0
	v_mul_f64_e64 v[38:39], v[36:37], -v[11:12]
	v_mul_f64_e32 v[40:41], v[9:10], v[36:37]
	v_fma_f64 v[36:37], v[9:10], v[34:35], v[38:39]
	s_delay_alu instid0(VALU_DEP_2)
	v_fma_f64 v[38:39], v[11:12], v[34:35], v[40:41]
	ds_store_b128 v23, v[36:39] offset:128
.LBB31_25:                              ;   in Loop: Header=BB31_12 Depth=2
	s_or_b32 exec_lo, exec_lo, s15
	s_and_saveexec_b32 s15, s30
	s_cbranch_execz .LBB31_29
; %bb.26:                               ;   in Loop: Header=BB31_12 Depth=2
	s_and_not1_b32 vcc_lo, exec_lo, s27
	s_wait_alu 0xfffe
	s_cbranch_vccnz .LBB31_38
; %bb.27:                               ;   in Loop: Header=BB31_12 Depth=2
	v_add_nc_u32_e32 v14, s21, v18
	s_delay_alu instid0(VALU_DEP_1) | instskip(NEXT) | instid1(VALU_DEP_1)
	v_lshlrev_b64_e32 v[34:35], 4, v[14:15]
	v_add_co_u32 v34, vcc_lo, s18, v34
	s_wait_alu 0xfffd
	s_delay_alu instid0(VALU_DEP_2) | instskip(SKIP_4) | instid1(VALU_DEP_2)
	v_add_co_ci_u32_e64 v35, null, s19, v35, vcc_lo
	global_load_b128 v[34:37], v[34:35], off
	s_wait_loadcnt 0x0
	v_mul_f64_e64 v[38:39], v[36:37], -v[11:12]
	v_mul_f64_e32 v[40:41], v[9:10], v[36:37]
	v_fma_f64 v[36:37], v[9:10], v[34:35], v[38:39]
	s_delay_alu instid0(VALU_DEP_2)
	v_fma_f64 v[38:39], v[11:12], v[34:35], v[40:41]
	ds_store_b128 v31, v[36:39]
	s_cbranch_execnz .LBB31_29
.LBB31_28:                              ;   in Loop: Header=BB31_12 Depth=2
	v_add3_u32 v14, v20, s21, 16
	s_delay_alu instid0(VALU_DEP_1) | instskip(NEXT) | instid1(VALU_DEP_1)
	v_lshlrev_b64_e32 v[34:35], 4, v[14:15]
	v_add_co_u32 v34, vcc_lo, s18, v34
	s_wait_alu 0xfffd
	s_delay_alu instid0(VALU_DEP_2) | instskip(SKIP_4) | instid1(VALU_DEP_2)
	v_add_co_ci_u32_e64 v35, null, s19, v35, vcc_lo
	global_load_b128 v[34:37], v[34:35], off
	s_wait_loadcnt 0x0
	v_mul_f64_e64 v[38:39], v[36:37], -v[11:12]
	v_mul_f64_e32 v[40:41], v[9:10], v[36:37]
	v_fma_f64 v[36:37], v[9:10], v[34:35], v[38:39]
	s_delay_alu instid0(VALU_DEP_2)
	v_fma_f64 v[38:39], v[11:12], v[34:35], v[40:41]
	ds_store_b128 v23, v[36:39] offset:256
.LBB31_29:                              ;   in Loop: Header=BB31_12 Depth=2
	s_or_b32 exec_lo, exec_lo, s15
	s_and_saveexec_b32 s15, s31
	s_cbranch_execz .LBB31_33
; %bb.30:                               ;   in Loop: Header=BB31_12 Depth=2
	s_and_not1_b32 vcc_lo, exec_lo, s27
	s_wait_alu 0xfffe
	s_cbranch_vccnz .LBB31_39
; %bb.31:                               ;   in Loop: Header=BB31_12 Depth=2
	v_add_nc_u32_e32 v14, s21, v19
	s_delay_alu instid0(VALU_DEP_1) | instskip(NEXT) | instid1(VALU_DEP_1)
	v_lshlrev_b64_e32 v[34:35], 4, v[14:15]
	v_add_co_u32 v34, vcc_lo, s18, v34
	s_wait_alu 0xfffd
	s_delay_alu instid0(VALU_DEP_2) | instskip(SKIP_4) | instid1(VALU_DEP_2)
	v_add_co_ci_u32_e64 v35, null, s19, v35, vcc_lo
	global_load_b128 v[34:37], v[34:35], off
	s_wait_loadcnt 0x0
	v_mul_f64_e64 v[38:39], v[36:37], -v[11:12]
	v_mul_f64_e32 v[40:41], v[9:10], v[36:37]
	v_fma_f64 v[36:37], v[9:10], v[34:35], v[38:39]
	s_delay_alu instid0(VALU_DEP_2)
	v_fma_f64 v[38:39], v[11:12], v[34:35], v[40:41]
	ds_store_b128 v32, v[36:39]
	s_cbranch_execnz .LBB31_33
.LBB31_32:                              ;   in Loop: Header=BB31_12 Depth=2
	v_add3_u32 v14, v20, s21, 24
	s_delay_alu instid0(VALU_DEP_1) | instskip(NEXT) | instid1(VALU_DEP_1)
	v_lshlrev_b64_e32 v[34:35], 4, v[14:15]
	v_add_co_u32 v34, vcc_lo, s18, v34
	s_wait_alu 0xfffd
	s_delay_alu instid0(VALU_DEP_2) | instskip(SKIP_4) | instid1(VALU_DEP_2)
	v_add_co_ci_u32_e64 v35, null, s19, v35, vcc_lo
	global_load_b128 v[34:37], v[34:35], off
	s_wait_loadcnt 0x0
	v_mul_f64_e64 v[38:39], v[36:37], -v[11:12]
	v_mul_f64_e32 v[40:41], v[9:10], v[36:37]
	v_fma_f64 v[36:37], v[9:10], v[34:35], v[38:39]
	s_delay_alu instid0(VALU_DEP_2)
	v_fma_f64 v[38:39], v[11:12], v[34:35], v[40:41]
	ds_store_b128 v23, v[36:39] offset:384
.LBB31_33:                              ;   in Loop: Header=BB31_12 Depth=2
	s_or_b32 exec_lo, exec_lo, s15
	s_mov_b32 s15, s34
	s_and_not1_b32 vcc_lo, exec_lo, s35
	s_mov_b32 s34, -1
	s_wait_alu 0xfffe
	s_cbranch_vccz .LBB31_15
.LBB31_34:                              ;   in Loop: Header=BB31_12 Depth=2
                                        ; implicit-def: $sgpr21
                                        ; implicit-def: $sgpr0_sgpr1
	s_and_not1_b32 vcc_lo, exec_lo, s34
	s_wait_alu 0xfffe
	s_cbranch_vccz .LBB31_41
.LBB31_35:                              ;   in Loop: Header=BB31_12 Depth=2
	s_mov_b32 s34, s15
	s_branch .LBB31_12
.LBB31_36:                              ;   in Loop: Header=BB31_12 Depth=2
	s_branch .LBB31_20
.LBB31_37:                              ;   in Loop: Header=BB31_12 Depth=2
	s_branch .LBB31_24
.LBB31_38:                              ;   in Loop: Header=BB31_12 Depth=2
	s_branch .LBB31_28
.LBB31_39:                              ;   in Loop: Header=BB31_12 Depth=2
	s_branch .LBB31_32
.LBB31_40:                              ;   in Loop: Header=BB31_10 Depth=1
	s_mov_b32 s15, s2
.LBB31_41:                              ;   in Loop: Header=BB31_10 Depth=1
	s_cmp_ge_i32 s20, s26
	s_wait_loadcnt_dscnt 0x0
	s_barrier_signal -1
	s_barrier_wait -1
	global_inv scope:SCOPE_SE
	s_cbranch_scc1 .LBB31_71
; %bb.42:                               ;   in Loop: Header=BB31_10 Depth=1
	s_mul_i32 s0, s3, s20
	s_ashr_i32 s21, s20, 31
	s_wait_alu 0xfffe
	v_add_nc_u32_e32 v14, s0, v0
	v_add_nc_u32_e32 v18, s0, v22
	;; [unrolled: 1-line block ×4, first 2 shown]
	s_delay_alu instid0(VALU_DEP_4) | instskip(NEXT) | instid1(VALU_DEP_4)
	v_mad_co_u64_u32 v[16:17], null, s3, v14, v[13:14]
	v_mad_co_u64_u32 v[17:18], null, s3, v18, v[13:14]
	v_add_nc_u32_e32 v14, s0, v29
	s_lshl_b64 s[0:1], s[20:21], 2
	s_mov_b32 s21, 0
	s_wait_alu 0xfffe
	s_add_nc_u64 s[0:1], s[8:9], s[0:1]
	v_mad_co_u64_u32 v[18:19], null, s3, v19, v[13:14]
	v_mad_co_u64_u32 v[19:20], null, s3, v14, v[13:14]
	;; [unrolled: 1-line block ×3, first 2 shown]
.LBB31_43:                              ;   Parent Loop BB31_10 Depth=1
                                        ; =>  This Inner Loop Header: Depth=2
	global_load_b32 v14, v15, s[0:1]
	s_mov_b32 s36, -1
                                        ; implicit-def: $sgpr35
	s_wait_loadcnt 0x0
	v_readfirstlane_b32 s34, v14
	s_sub_co_i32 s37, s34, s5
	s_wait_alu 0xfffe
	s_cmp_eq_u32 s37, s25
	s_cselect_b32 s34, -1, 0
	s_cmp_lg_u32 s37, s25
	s_cbranch_scc1 .LBB31_47
; %bb.44:                               ;   in Loop: Header=BB31_43 Depth=2
	s_and_not1_b32 vcc_lo, exec_lo, s36
	s_wait_alu 0xfffe
	s_cbranch_vccz .LBB31_48
.LBB31_45:                              ;   in Loop: Header=BB31_43 Depth=2
	s_and_not1_b32 vcc_lo, exec_lo, s34
	s_mov_b32 s15, -1
	s_wait_alu 0xfffe
	s_cbranch_vccnz .LBB31_65
.LBB31_46:                              ;   in Loop: Header=BB31_43 Depth=2
	s_add_co_i32 s20, s20, 1
	s_add_co_i32 s21, s21, s33
	s_wait_alu 0xfffe
	s_cmp_ge_i32 s20, s26
	s_add_nc_u64 s[0:1], s[0:1], 4
	s_cselect_b32 s15, -1, 0
	s_delay_alu instid0(SALU_CYCLE_1)
	s_and_not1_b32 vcc_lo, exec_lo, s15
	s_wait_alu 0xfffe
	s_cbranch_vccnz .LBB31_66
	s_branch .LBB31_72
.LBB31_47:                              ;   in Loop: Header=BB31_43 Depth=2
	s_min_i32 s35, s37, s15
	s_cbranch_execnz .LBB31_45
.LBB31_48:                              ;   in Loop: Header=BB31_43 Depth=2
	ds_store_b32 v15, v33 offset:16384
	s_and_saveexec_b32 s35, s28
	s_cbranch_execz .LBB31_52
; %bb.49:                               ;   in Loop: Header=BB31_43 Depth=2
	s_and_b32 vcc_lo, exec_lo, s27
	s_wait_alu 0xfffe
	s_cbranch_vccz .LBB31_67
; %bb.50:                               ;   in Loop: Header=BB31_43 Depth=2
	v_add_nc_u32_e32 v14, s21, v16
	ds_load_b128 v[38:41], v28
	v_lshlrev_b64_e32 v[34:35], 4, v[14:15]
	s_delay_alu instid0(VALU_DEP_1) | instskip(SKIP_1) | instid1(VALU_DEP_2)
	v_add_co_u32 v34, vcc_lo, s10, v34
	s_wait_alu 0xfffd
	v_add_co_ci_u32_e64 v35, null, s11, v35, vcc_lo
	global_load_b128 v[34:37], v[34:35], off
	s_wait_loadcnt_dscnt 0x0
	v_fma_f64 v[38:39], v[1:2], v[34:35], v[38:39]
	v_fma_f64 v[40:41], v[3:4], v[34:35], v[40:41]
	s_delay_alu instid0(VALU_DEP_2) | instskip(NEXT) | instid1(VALU_DEP_2)
	v_fma_f64 v[34:35], -v[3:4], v[36:37], v[38:39]
	v_fma_f64 v[36:37], v[1:2], v[36:37], v[40:41]
	ds_store_b128 v28, v[34:37]
	s_cbranch_execnz .LBB31_52
.LBB31_51:                              ;   in Loop: Header=BB31_43 Depth=2
	v_add_nc_u32_e32 v14, s21, v20
	ds_load_b128 v[38:41], v23
	v_lshlrev_b64_e32 v[34:35], 4, v[14:15]
	s_delay_alu instid0(VALU_DEP_1) | instskip(SKIP_1) | instid1(VALU_DEP_2)
	v_add_co_u32 v34, vcc_lo, s10, v34
	s_wait_alu 0xfffd
	v_add_co_ci_u32_e64 v35, null, s11, v35, vcc_lo
	global_load_b128 v[34:37], v[34:35], off
	s_wait_loadcnt_dscnt 0x0
	v_fma_f64 v[38:39], v[1:2], v[34:35], v[38:39]
	v_fma_f64 v[40:41], v[3:4], v[34:35], v[40:41]
	s_delay_alu instid0(VALU_DEP_2) | instskip(NEXT) | instid1(VALU_DEP_2)
	v_fma_f64 v[34:35], -v[3:4], v[36:37], v[38:39]
	v_fma_f64 v[36:37], v[1:2], v[36:37], v[40:41]
	ds_store_b128 v23, v[34:37]
.LBB31_52:                              ;   in Loop: Header=BB31_43 Depth=2
	s_or_b32 exec_lo, exec_lo, s35
	s_and_saveexec_b32 s35, s29
	s_cbranch_execz .LBB31_56
; %bb.53:                               ;   in Loop: Header=BB31_43 Depth=2
	s_and_not1_b32 vcc_lo, exec_lo, s27
	s_wait_alu 0xfffe
	s_cbranch_vccnz .LBB31_68
; %bb.54:                               ;   in Loop: Header=BB31_43 Depth=2
	v_add_nc_u32_e32 v14, s21, v17
	ds_load_b128 v[38:41], v30
	v_lshlrev_b64_e32 v[34:35], 4, v[14:15]
	s_delay_alu instid0(VALU_DEP_1) | instskip(SKIP_1) | instid1(VALU_DEP_2)
	v_add_co_u32 v34, vcc_lo, s10, v34
	s_wait_alu 0xfffd
	v_add_co_ci_u32_e64 v35, null, s11, v35, vcc_lo
	global_load_b128 v[34:37], v[34:35], off
	s_wait_loadcnt_dscnt 0x0
	v_fma_f64 v[38:39], v[1:2], v[34:35], v[38:39]
	v_fma_f64 v[40:41], v[3:4], v[34:35], v[40:41]
	s_delay_alu instid0(VALU_DEP_2) | instskip(NEXT) | instid1(VALU_DEP_2)
	v_fma_f64 v[34:35], -v[3:4], v[36:37], v[38:39]
	v_fma_f64 v[36:37], v[1:2], v[36:37], v[40:41]
	ds_store_b128 v30, v[34:37]
	s_cbranch_execnz .LBB31_56
.LBB31_55:                              ;   in Loop: Header=BB31_43 Depth=2
	v_add3_u32 v14, v20, s21, 8
	ds_load_b128 v[38:41], v23 offset:128
	v_lshlrev_b64_e32 v[34:35], 4, v[14:15]
	s_delay_alu instid0(VALU_DEP_1) | instskip(SKIP_1) | instid1(VALU_DEP_2)
	v_add_co_u32 v34, vcc_lo, s10, v34
	s_wait_alu 0xfffd
	v_add_co_ci_u32_e64 v35, null, s11, v35, vcc_lo
	global_load_b128 v[34:37], v[34:35], off
	s_wait_loadcnt_dscnt 0x0
	v_fma_f64 v[38:39], v[1:2], v[34:35], v[38:39]
	v_fma_f64 v[40:41], v[3:4], v[34:35], v[40:41]
	s_delay_alu instid0(VALU_DEP_2) | instskip(NEXT) | instid1(VALU_DEP_2)
	v_fma_f64 v[34:35], -v[3:4], v[36:37], v[38:39]
	v_fma_f64 v[36:37], v[1:2], v[36:37], v[40:41]
	ds_store_b128 v23, v[34:37] offset:128
.LBB31_56:                              ;   in Loop: Header=BB31_43 Depth=2
	s_or_b32 exec_lo, exec_lo, s35
	s_and_saveexec_b32 s35, s30
	s_cbranch_execz .LBB31_60
; %bb.57:                               ;   in Loop: Header=BB31_43 Depth=2
	s_and_not1_b32 vcc_lo, exec_lo, s27
	s_wait_alu 0xfffe
	s_cbranch_vccnz .LBB31_69
; %bb.58:                               ;   in Loop: Header=BB31_43 Depth=2
	v_add_nc_u32_e32 v14, s21, v18
	ds_load_b128 v[38:41], v31
	v_lshlrev_b64_e32 v[34:35], 4, v[14:15]
	s_delay_alu instid0(VALU_DEP_1) | instskip(SKIP_1) | instid1(VALU_DEP_2)
	v_add_co_u32 v34, vcc_lo, s10, v34
	s_wait_alu 0xfffd
	v_add_co_ci_u32_e64 v35, null, s11, v35, vcc_lo
	global_load_b128 v[34:37], v[34:35], off
	s_wait_loadcnt_dscnt 0x0
	v_fma_f64 v[38:39], v[1:2], v[34:35], v[38:39]
	v_fma_f64 v[40:41], v[3:4], v[34:35], v[40:41]
	s_delay_alu instid0(VALU_DEP_2) | instskip(NEXT) | instid1(VALU_DEP_2)
	v_fma_f64 v[34:35], -v[3:4], v[36:37], v[38:39]
	v_fma_f64 v[36:37], v[1:2], v[36:37], v[40:41]
	ds_store_b128 v31, v[34:37]
	s_cbranch_execnz .LBB31_60
.LBB31_59:                              ;   in Loop: Header=BB31_43 Depth=2
	v_add3_u32 v14, v20, s21, 16
	ds_load_b128 v[38:41], v23 offset:256
	v_lshlrev_b64_e32 v[34:35], 4, v[14:15]
	s_delay_alu instid0(VALU_DEP_1) | instskip(SKIP_1) | instid1(VALU_DEP_2)
	v_add_co_u32 v34, vcc_lo, s10, v34
	s_wait_alu 0xfffd
	v_add_co_ci_u32_e64 v35, null, s11, v35, vcc_lo
	global_load_b128 v[34:37], v[34:35], off
	s_wait_loadcnt_dscnt 0x0
	v_fma_f64 v[38:39], v[1:2], v[34:35], v[38:39]
	v_fma_f64 v[40:41], v[3:4], v[34:35], v[40:41]
	s_delay_alu instid0(VALU_DEP_2) | instskip(NEXT) | instid1(VALU_DEP_2)
	v_fma_f64 v[34:35], -v[3:4], v[36:37], v[38:39]
	v_fma_f64 v[36:37], v[1:2], v[36:37], v[40:41]
	ds_store_b128 v23, v[34:37] offset:256
.LBB31_60:                              ;   in Loop: Header=BB31_43 Depth=2
	s_or_b32 exec_lo, exec_lo, s35
	s_and_saveexec_b32 s35, s31
	s_cbranch_execz .LBB31_64
; %bb.61:                               ;   in Loop: Header=BB31_43 Depth=2
	s_and_not1_b32 vcc_lo, exec_lo, s27
	s_wait_alu 0xfffe
	s_cbranch_vccnz .LBB31_70
; %bb.62:                               ;   in Loop: Header=BB31_43 Depth=2
	v_add_nc_u32_e32 v14, s21, v19
	ds_load_b128 v[38:41], v32
	v_lshlrev_b64_e32 v[34:35], 4, v[14:15]
	s_delay_alu instid0(VALU_DEP_1) | instskip(SKIP_1) | instid1(VALU_DEP_2)
	v_add_co_u32 v34, vcc_lo, s10, v34
	s_wait_alu 0xfffd
	v_add_co_ci_u32_e64 v35, null, s11, v35, vcc_lo
	global_load_b128 v[34:37], v[34:35], off
	s_wait_loadcnt_dscnt 0x0
	v_fma_f64 v[38:39], v[1:2], v[34:35], v[38:39]
	v_fma_f64 v[40:41], v[3:4], v[34:35], v[40:41]
	s_delay_alu instid0(VALU_DEP_2) | instskip(NEXT) | instid1(VALU_DEP_2)
	v_fma_f64 v[34:35], -v[3:4], v[36:37], v[38:39]
	v_fma_f64 v[36:37], v[1:2], v[36:37], v[40:41]
	ds_store_b128 v32, v[34:37]
	s_cbranch_execnz .LBB31_64
.LBB31_63:                              ;   in Loop: Header=BB31_43 Depth=2
	v_add3_u32 v14, v20, s21, 24
	ds_load_b128 v[38:41], v23 offset:384
	v_lshlrev_b64_e32 v[34:35], 4, v[14:15]
	s_delay_alu instid0(VALU_DEP_1) | instskip(SKIP_1) | instid1(VALU_DEP_2)
	v_add_co_u32 v34, vcc_lo, s10, v34
	s_wait_alu 0xfffd
	v_add_co_ci_u32_e64 v35, null, s11, v35, vcc_lo
	global_load_b128 v[34:37], v[34:35], off
	s_wait_loadcnt_dscnt 0x0
	v_fma_f64 v[38:39], v[1:2], v[34:35], v[38:39]
	v_fma_f64 v[40:41], v[3:4], v[34:35], v[40:41]
	s_delay_alu instid0(VALU_DEP_2) | instskip(NEXT) | instid1(VALU_DEP_2)
	v_fma_f64 v[34:35], -v[3:4], v[36:37], v[38:39]
	v_fma_f64 v[36:37], v[1:2], v[36:37], v[40:41]
	ds_store_b128 v23, v[34:37] offset:384
.LBB31_64:                              ;   in Loop: Header=BB31_43 Depth=2
	s_or_b32 exec_lo, exec_lo, s35
	s_mov_b32 s35, s15
	s_and_not1_b32 vcc_lo, exec_lo, s34
	s_mov_b32 s15, -1
	s_wait_alu 0xfffe
	s_cbranch_vccz .LBB31_46
.LBB31_65:                              ;   in Loop: Header=BB31_43 Depth=2
                                        ; implicit-def: $sgpr21
                                        ; implicit-def: $sgpr0_sgpr1
	s_and_not1_b32 vcc_lo, exec_lo, s15
	s_wait_alu 0xfffe
	s_cbranch_vccz .LBB31_72
.LBB31_66:                              ;   in Loop: Header=BB31_43 Depth=2
	s_mov_b32 s15, s35
	s_branch .LBB31_43
.LBB31_67:                              ;   in Loop: Header=BB31_43 Depth=2
	s_branch .LBB31_51
.LBB31_68:                              ;   in Loop: Header=BB31_43 Depth=2
	s_branch .LBB31_55
.LBB31_69:                              ;   in Loop: Header=BB31_43 Depth=2
	s_branch .LBB31_59
.LBB31_70:                              ;   in Loop: Header=BB31_43 Depth=2
	s_branch .LBB31_63
.LBB31_71:                              ;   in Loop: Header=BB31_10 Depth=1
	s_mov_b32 s35, s15
.LBB31_72:                              ;   in Loop: Header=BB31_10 Depth=1
	s_wait_loadcnt_dscnt 0x0
	s_barrier_signal -1
	s_barrier_wait -1
	global_inv scope:SCOPE_SE
	ds_load_b32 v14, v15 offset:16384
	s_wait_dscnt 0x0
	v_cmp_eq_u32_e32 vcc_lo, 0, v14
	s_cbranch_vccnz .LBB31_9
; %bb.73:                               ;   in Loop: Header=BB31_10 Depth=1
	s_mul_i32 s0, s24, s3
	s_add_co_i32 s1, s25, s6
	s_wait_alu 0xfffe
	v_add_nc_u32_e32 v14, s0, v13
	s_ashr_i32 s25, s24, 31
	s_delay_alu instid0(SALU_CYCLE_1)
	s_lshl_b64 s[36:37], s[24:25], 2
	s_wait_alu 0xfffe
	s_add_nc_u64 s[36:37], s[22:23], s[36:37]
	v_mul_lo_u32 v16, v14, s3
	v_mov_b32_e32 v14, s1
	global_store_b32 v15, v14, s[36:37]
	s_and_saveexec_b32 s1, s28
	s_cbranch_execnz .LBB31_77
; %bb.74:                               ;   in Loop: Header=BB31_10 Depth=1
	s_wait_alu 0xfffe
	s_or_b32 exec_lo, exec_lo, s1
	s_and_saveexec_b32 s1, s29
	s_cbranch_execnz .LBB31_81
.LBB31_75:                              ;   in Loop: Header=BB31_10 Depth=1
	s_wait_alu 0xfffe
	s_or_b32 exec_lo, exec_lo, s1
	s_and_saveexec_b32 s1, s30
	s_cbranch_execnz .LBB31_85
.LBB31_76:                              ;   in Loop: Header=BB31_10 Depth=1
	s_wait_alu 0xfffe
	s_or_b32 exec_lo, exec_lo, s1
	s_and_saveexec_b32 s1, s31
	s_cbranch_execz .LBB31_8
	s_branch .LBB31_89
.LBB31_77:                              ;   in Loop: Header=BB31_10 Depth=1
	s_and_b32 vcc_lo, exec_lo, s27
	s_wait_alu 0xfffe
	s_cbranch_vccz .LBB31_91
; %bb.78:                               ;   in Loop: Header=BB31_10 Depth=1
	v_add_nc_u32_e32 v14, s0, v0
	s_delay_alu instid0(VALU_DEP_1) | instskip(NEXT) | instid1(VALU_DEP_1)
	v_mad_co_u64_u32 v[17:18], null, v14, s3, v[13:14]
	v_dual_mov_b32 v14, v17 :: v_dual_mov_b32 v17, v28
	s_cbranch_execnz .LBB31_80
.LBB31_79:                              ;   in Loop: Header=BB31_10 Depth=1
	v_dual_mov_b32 v17, v23 :: v_dual_add_nc_u32 v14, v16, v0
.LBB31_80:                              ;   in Loop: Header=BB31_10 Depth=1
	ds_load_2addr_b64 v[17:20], v17 offset1:1
	v_lshlrev_b64_e32 v[34:35], 4, v[14:15]
	s_delay_alu instid0(VALU_DEP_1) | instskip(SKIP_1) | instid1(VALU_DEP_2)
	v_add_co_u32 v34, vcc_lo, s16, v34
	s_wait_alu 0xfffd
	v_add_co_ci_u32_e64 v35, null, s17, v35, vcc_lo
	s_wait_dscnt 0x0
	global_store_b128 v[34:35], v[17:20], off
	s_or_b32 exec_lo, exec_lo, s1
	s_and_saveexec_b32 s1, s29
	s_cbranch_execz .LBB31_75
.LBB31_81:                              ;   in Loop: Header=BB31_10 Depth=1
	s_and_not1_b32 vcc_lo, exec_lo, s27
	s_wait_alu 0xfffe
	s_cbranch_vccnz .LBB31_92
; %bb.82:                               ;   in Loop: Header=BB31_10 Depth=1
	v_add_nc_u32_e32 v14, s0, v22
	s_delay_alu instid0(VALU_DEP_1) | instskip(NEXT) | instid1(VALU_DEP_1)
	v_mad_co_u64_u32 v[17:18], null, v14, s3, v[13:14]
	v_dual_mov_b32 v14, v17 :: v_dual_mov_b32 v17, v30
	s_cbranch_execnz .LBB31_84
.LBB31_83:                              ;   in Loop: Header=BB31_10 Depth=1
	v_dual_mov_b32 v17, v25 :: v_dual_add_nc_u32 v14, v16, v22
.LBB31_84:                              ;   in Loop: Header=BB31_10 Depth=1
	ds_load_2addr_b64 v[17:20], v17 offset1:1
	v_lshlrev_b64_e32 v[34:35], 4, v[14:15]
	s_delay_alu instid0(VALU_DEP_1) | instskip(SKIP_1) | instid1(VALU_DEP_2)
	v_add_co_u32 v34, vcc_lo, s16, v34
	s_wait_alu 0xfffd
	v_add_co_ci_u32_e64 v35, null, s17, v35, vcc_lo
	s_wait_dscnt 0x0
	global_store_b128 v[34:35], v[17:20], off
	s_or_b32 exec_lo, exec_lo, s1
	s_and_saveexec_b32 s1, s30
	s_cbranch_execz .LBB31_76
.LBB31_85:                              ;   in Loop: Header=BB31_10 Depth=1
	s_and_not1_b32 vcc_lo, exec_lo, s27
	s_wait_alu 0xfffe
	s_cbranch_vccnz .LBB31_93
; %bb.86:                               ;   in Loop: Header=BB31_10 Depth=1
	v_add_nc_u32_e32 v14, s0, v24
	s_delay_alu instid0(VALU_DEP_1) | instskip(NEXT) | instid1(VALU_DEP_1)
	v_mad_co_u64_u32 v[17:18], null, v14, s3, v[13:14]
	v_dual_mov_b32 v14, v17 :: v_dual_mov_b32 v17, v31
	s_cbranch_execnz .LBB31_88
.LBB31_87:                              ;   in Loop: Header=BB31_10 Depth=1
	v_dual_mov_b32 v17, v26 :: v_dual_add_nc_u32 v14, v16, v24
.LBB31_88:                              ;   in Loop: Header=BB31_10 Depth=1
	ds_load_2addr_b64 v[17:20], v17 offset1:1
	v_lshlrev_b64_e32 v[34:35], 4, v[14:15]
	s_delay_alu instid0(VALU_DEP_1) | instskip(SKIP_1) | instid1(VALU_DEP_2)
	v_add_co_u32 v34, vcc_lo, s16, v34
	s_wait_alu 0xfffd
	v_add_co_ci_u32_e64 v35, null, s17, v35, vcc_lo
	s_wait_dscnt 0x0
	global_store_b128 v[34:35], v[17:20], off
	s_or_b32 exec_lo, exec_lo, s1
	s_and_saveexec_b32 s1, s31
	s_cbranch_execz .LBB31_8
.LBB31_89:                              ;   in Loop: Header=BB31_10 Depth=1
	s_and_not1_b32 vcc_lo, exec_lo, s27
	s_wait_alu 0xfffe
	s_cbranch_vccnz .LBB31_94
; %bb.90:                               ;   in Loop: Header=BB31_10 Depth=1
	v_add_nc_u32_e32 v14, s0, v29
	s_delay_alu instid0(VALU_DEP_1) | instskip(NEXT) | instid1(VALU_DEP_1)
	v_mad_co_u64_u32 v[17:18], null, v14, s3, v[13:14]
	v_dual_mov_b32 v14, v17 :: v_dual_mov_b32 v17, v32
	s_cbranch_execnz .LBB31_7
	s_branch .LBB31_95
.LBB31_91:                              ;   in Loop: Header=BB31_10 Depth=1
	v_mov_b32_e32 v17, v28
	s_branch .LBB31_79
.LBB31_92:                              ;   in Loop: Header=BB31_10 Depth=1
	v_mov_b32_e32 v17, v30
	s_branch .LBB31_83
.LBB31_93:                              ;   in Loop: Header=BB31_10 Depth=1
	v_mov_b32_e32 v17, v31
	s_branch .LBB31_87
.LBB31_94:                              ;   in Loop: Header=BB31_10 Depth=1
	v_mov_b32_e32 v17, v32
.LBB31_95:                              ;   in Loop: Header=BB31_10 Depth=1
	v_dual_mov_b32 v17, v27 :: v_dual_add_nc_u32 v14, v16, v29
	s_branch .LBB31_7
.LBB31_96:
	s_endpgm
	.section	.rodata,"a",@progbits
	.p2align	6, 0x0
	.amdhsa_kernel _ZN9rocsparseL39bsrgeam_block_per_row_multipass_kernel2ILj256ELj32E21rocsparse_complex_numIdEEEv20rocsparse_direction_iiiNS_24const_host_device_scalarIT1_EEPKiS8_PKS5_S6_S8_S8_SA_S8_PiPS5_21rocsparse_index_base_SD_SD_b
		.amdhsa_group_segment_fixed_size 16392
		.amdhsa_private_segment_fixed_size 16
		.amdhsa_kernarg_size 136
		.amdhsa_user_sgpr_count 2
		.amdhsa_user_sgpr_dispatch_ptr 0
		.amdhsa_user_sgpr_queue_ptr 0
		.amdhsa_user_sgpr_kernarg_segment_ptr 1
		.amdhsa_user_sgpr_dispatch_id 0
		.amdhsa_user_sgpr_private_segment_size 0
		.amdhsa_wavefront_size32 1
		.amdhsa_uses_dynamic_stack 0
		.amdhsa_enable_private_segment 1
		.amdhsa_system_sgpr_workgroup_id_x 1
		.amdhsa_system_sgpr_workgroup_id_y 0
		.amdhsa_system_sgpr_workgroup_id_z 0
		.amdhsa_system_sgpr_workgroup_info 0
		.amdhsa_system_vgpr_workitem_id 0
		.amdhsa_next_free_vgpr 42
		.amdhsa_next_free_sgpr 40
		.amdhsa_reserve_vcc 1
		.amdhsa_float_round_mode_32 0
		.amdhsa_float_round_mode_16_64 0
		.amdhsa_float_denorm_mode_32 3
		.amdhsa_float_denorm_mode_16_64 3
		.amdhsa_fp16_overflow 0
		.amdhsa_workgroup_processor_mode 1
		.amdhsa_memory_ordered 1
		.amdhsa_forward_progress 1
		.amdhsa_inst_pref_size 31
		.amdhsa_round_robin_scheduling 0
		.amdhsa_exception_fp_ieee_invalid_op 0
		.amdhsa_exception_fp_denorm_src 0
		.amdhsa_exception_fp_ieee_div_zero 0
		.amdhsa_exception_fp_ieee_overflow 0
		.amdhsa_exception_fp_ieee_underflow 0
		.amdhsa_exception_fp_ieee_inexact 0
		.amdhsa_exception_int_div_zero 0
	.end_amdhsa_kernel
	.section	.text._ZN9rocsparseL39bsrgeam_block_per_row_multipass_kernel2ILj256ELj32E21rocsparse_complex_numIdEEEv20rocsparse_direction_iiiNS_24const_host_device_scalarIT1_EEPKiS8_PKS5_S6_S8_S8_SA_S8_PiPS5_21rocsparse_index_base_SD_SD_b,"axG",@progbits,_ZN9rocsparseL39bsrgeam_block_per_row_multipass_kernel2ILj256ELj32E21rocsparse_complex_numIdEEEv20rocsparse_direction_iiiNS_24const_host_device_scalarIT1_EEPKiS8_PKS5_S6_S8_S8_SA_S8_PiPS5_21rocsparse_index_base_SD_SD_b,comdat
.Lfunc_end31:
	.size	_ZN9rocsparseL39bsrgeam_block_per_row_multipass_kernel2ILj256ELj32E21rocsparse_complex_numIdEEEv20rocsparse_direction_iiiNS_24const_host_device_scalarIT1_EEPKiS8_PKS5_S6_S8_S8_SA_S8_PiPS5_21rocsparse_index_base_SD_SD_b, .Lfunc_end31-_ZN9rocsparseL39bsrgeam_block_per_row_multipass_kernel2ILj256ELj32E21rocsparse_complex_numIdEEEv20rocsparse_direction_iiiNS_24const_host_device_scalarIT1_EEPKiS8_PKS5_S6_S8_S8_SA_S8_PiPS5_21rocsparse_index_base_SD_SD_b
                                        ; -- End function
	.set _ZN9rocsparseL39bsrgeam_block_per_row_multipass_kernel2ILj256ELj32E21rocsparse_complex_numIdEEEv20rocsparse_direction_iiiNS_24const_host_device_scalarIT1_EEPKiS8_PKS5_S6_S8_S8_SA_S8_PiPS5_21rocsparse_index_base_SD_SD_b.num_vgpr, 42
	.set _ZN9rocsparseL39bsrgeam_block_per_row_multipass_kernel2ILj256ELj32E21rocsparse_complex_numIdEEEv20rocsparse_direction_iiiNS_24const_host_device_scalarIT1_EEPKiS8_PKS5_S6_S8_S8_SA_S8_PiPS5_21rocsparse_index_base_SD_SD_b.num_agpr, 0
	.set _ZN9rocsparseL39bsrgeam_block_per_row_multipass_kernel2ILj256ELj32E21rocsparse_complex_numIdEEEv20rocsparse_direction_iiiNS_24const_host_device_scalarIT1_EEPKiS8_PKS5_S6_S8_S8_SA_S8_PiPS5_21rocsparse_index_base_SD_SD_b.numbered_sgpr, 40
	.set _ZN9rocsparseL39bsrgeam_block_per_row_multipass_kernel2ILj256ELj32E21rocsparse_complex_numIdEEEv20rocsparse_direction_iiiNS_24const_host_device_scalarIT1_EEPKiS8_PKS5_S6_S8_S8_SA_S8_PiPS5_21rocsparse_index_base_SD_SD_b.num_named_barrier, 0
	.set _ZN9rocsparseL39bsrgeam_block_per_row_multipass_kernel2ILj256ELj32E21rocsparse_complex_numIdEEEv20rocsparse_direction_iiiNS_24const_host_device_scalarIT1_EEPKiS8_PKS5_S6_S8_S8_SA_S8_PiPS5_21rocsparse_index_base_SD_SD_b.private_seg_size, 16
	.set _ZN9rocsparseL39bsrgeam_block_per_row_multipass_kernel2ILj256ELj32E21rocsparse_complex_numIdEEEv20rocsparse_direction_iiiNS_24const_host_device_scalarIT1_EEPKiS8_PKS5_S6_S8_S8_SA_S8_PiPS5_21rocsparse_index_base_SD_SD_b.uses_vcc, 1
	.set _ZN9rocsparseL39bsrgeam_block_per_row_multipass_kernel2ILj256ELj32E21rocsparse_complex_numIdEEEv20rocsparse_direction_iiiNS_24const_host_device_scalarIT1_EEPKiS8_PKS5_S6_S8_S8_SA_S8_PiPS5_21rocsparse_index_base_SD_SD_b.uses_flat_scratch, 0
	.set _ZN9rocsparseL39bsrgeam_block_per_row_multipass_kernel2ILj256ELj32E21rocsparse_complex_numIdEEEv20rocsparse_direction_iiiNS_24const_host_device_scalarIT1_EEPKiS8_PKS5_S6_S8_S8_SA_S8_PiPS5_21rocsparse_index_base_SD_SD_b.has_dyn_sized_stack, 0
	.set _ZN9rocsparseL39bsrgeam_block_per_row_multipass_kernel2ILj256ELj32E21rocsparse_complex_numIdEEEv20rocsparse_direction_iiiNS_24const_host_device_scalarIT1_EEPKiS8_PKS5_S6_S8_S8_SA_S8_PiPS5_21rocsparse_index_base_SD_SD_b.has_recursion, 0
	.set _ZN9rocsparseL39bsrgeam_block_per_row_multipass_kernel2ILj256ELj32E21rocsparse_complex_numIdEEEv20rocsparse_direction_iiiNS_24const_host_device_scalarIT1_EEPKiS8_PKS5_S6_S8_S8_SA_S8_PiPS5_21rocsparse_index_base_SD_SD_b.has_indirect_call, 0
	.section	.AMDGPU.csdata,"",@progbits
; Kernel info:
; codeLenInByte = 3864
; TotalNumSgprs: 42
; NumVgprs: 42
; ScratchSize: 16
; MemoryBound: 0
; FloatMode: 240
; IeeeMode: 1
; LDSByteSize: 16392 bytes/workgroup (compile time only)
; SGPRBlocks: 0
; VGPRBlocks: 5
; NumSGPRsForWavesPerEU: 42
; NumVGPRsForWavesPerEU: 42
; Occupancy: 14
; WaveLimiterHint : 1
; COMPUTE_PGM_RSRC2:SCRATCH_EN: 1
; COMPUTE_PGM_RSRC2:USER_SGPR: 2
; COMPUTE_PGM_RSRC2:TRAP_HANDLER: 0
; COMPUTE_PGM_RSRC2:TGID_X_EN: 1
; COMPUTE_PGM_RSRC2:TGID_Y_EN: 0
; COMPUTE_PGM_RSRC2:TGID_Z_EN: 0
; COMPUTE_PGM_RSRC2:TIDIG_COMP_CNT: 0
	.section	.AMDGPU.gpr_maximums,"",@progbits
	.set amdgpu.max_num_vgpr, 0
	.set amdgpu.max_num_agpr, 0
	.set amdgpu.max_num_sgpr, 0
	.section	.AMDGPU.csdata,"",@progbits
	.type	__hip_cuid_a0cc8b5e6d8d095a,@object ; @__hip_cuid_a0cc8b5e6d8d095a
	.section	.bss,"aw",@nobits
	.globl	__hip_cuid_a0cc8b5e6d8d095a
__hip_cuid_a0cc8b5e6d8d095a:
	.byte	0                               ; 0x0
	.size	__hip_cuid_a0cc8b5e6d8d095a, 1

	.ident	"AMD clang version 22.0.0git (https://github.com/RadeonOpenCompute/llvm-project roc-7.2.4 26084 f58b06dce1f9c15707c5f808fd002e18c2accf7e)"
	.section	".note.GNU-stack","",@progbits
	.addrsig
	.addrsig_sym __hip_cuid_a0cc8b5e6d8d095a
	.amdgpu_metadata
---
amdhsa.kernels:
  - .args:
      - .offset:         0
        .size:           4
        .value_kind:     by_value
      - .offset:         4
        .size:           4
        .value_kind:     by_value
      - .offset:         8
        .size:           4
        .value_kind:     by_value
      - .offset:         12
        .size:           4
        .value_kind:     by_value
      - .offset:         16
        .size:           8
        .value_kind:     by_value
      - .actual_access:  read_only
        .address_space:  global
        .offset:         24
        .size:           8
        .value_kind:     global_buffer
      - .actual_access:  read_only
        .address_space:  global
        .offset:         32
        .size:           8
        .value_kind:     global_buffer
      - .actual_access:  read_only
        .address_space:  global
        .offset:         40
        .size:           8
        .value_kind:     global_buffer
      - .offset:         48
        .size:           8
        .value_kind:     by_value
      - .actual_access:  read_only
        .address_space:  global
        .offset:         56
        .size:           8
        .value_kind:     global_buffer
      - .actual_access:  read_only
        .address_space:  global
        .offset:         64
        .size:           8
        .value_kind:     global_buffer
      - .actual_access:  read_only
        .address_space:  global
        .offset:         72
        .size:           8
        .value_kind:     global_buffer
      - .actual_access:  read_only
        .address_space:  global
        .offset:         80
        .size:           8
        .value_kind:     global_buffer
      - .actual_access:  write_only
        .address_space:  global
        .offset:         88
        .size:           8
        .value_kind:     global_buffer
      - .actual_access:  write_only
        .address_space:  global
        .offset:         96
        .size:           8
        .value_kind:     global_buffer
      - .offset:         104
        .size:           4
        .value_kind:     by_value
      - .offset:         108
        .size:           4
        .value_kind:     by_value
      - .offset:         112
        .size:           4
        .value_kind:     by_value
      - .offset:         116
        .size:           1
        .value_kind:     by_value
    .group_segment_fixed_size: 4352
    .kernarg_segment_align: 8
    .kernarg_segment_size: 120
    .language:       OpenCL C
    .language_version:
      - 2
      - 0
    .max_flat_workgroup_size: 256
    .name:           _ZN9rocsparseL39bsrgeam_wf_per_row_multipass_2_3_kernelILj256ELj2ELj32EfEEv20rocsparse_direction_iiiNS_24const_host_device_scalarIT2_EEPKiS6_PKS3_S4_S6_S6_S8_S6_PiPS3_21rocsparse_index_base_SB_SB_b
    .private_segment_fixed_size: 0
    .sgpr_count:     28
    .sgpr_spill_count: 0
    .symbol:         _ZN9rocsparseL39bsrgeam_wf_per_row_multipass_2_3_kernelILj256ELj2ELj32EfEEv20rocsparse_direction_iiiNS_24const_host_device_scalarIT2_EEPKiS6_PKS3_S4_S6_S6_S8_S6_PiPS3_21rocsparse_index_base_SB_SB_b.kd
    .uniform_work_group_size: 1
    .uses_dynamic_stack: false
    .vgpr_count:     38
    .vgpr_spill_count: 0
    .wavefront_size: 32
    .workgroup_processor_mode: 1
  - .args:
      - .offset:         0
        .size:           4
        .value_kind:     by_value
      - .offset:         4
        .size:           4
        .value_kind:     by_value
      - .offset:         8
        .size:           4
        .value_kind:     by_value
      - .offset:         12
        .size:           4
        .value_kind:     by_value
      - .offset:         16
        .size:           8
        .value_kind:     by_value
      - .actual_access:  read_only
        .address_space:  global
        .offset:         24
        .size:           8
        .value_kind:     global_buffer
      - .actual_access:  read_only
        .address_space:  global
        .offset:         32
        .size:           8
        .value_kind:     global_buffer
      - .actual_access:  read_only
        .address_space:  global
        .offset:         40
        .size:           8
        .value_kind:     global_buffer
      - .offset:         48
        .size:           8
        .value_kind:     by_value
      - .actual_access:  read_only
        .address_space:  global
        .offset:         56
        .size:           8
        .value_kind:     global_buffer
      - .actual_access:  read_only
        .address_space:  global
        .offset:         64
        .size:           8
        .value_kind:     global_buffer
      - .actual_access:  read_only
        .address_space:  global
        .offset:         72
        .size:           8
        .value_kind:     global_buffer
      - .actual_access:  read_only
        .address_space:  global
        .offset:         80
        .size:           8
        .value_kind:     global_buffer
      - .actual_access:  write_only
        .address_space:  global
        .offset:         88
        .size:           8
        .value_kind:     global_buffer
      - .actual_access:  write_only
        .address_space:  global
        .offset:         96
        .size:           8
        .value_kind:     global_buffer
      - .offset:         104
        .size:           4
        .value_kind:     by_value
      - .offset:         108
        .size:           4
        .value_kind:     by_value
      - .offset:         112
        .size:           4
        .value_kind:     by_value
      - .offset:         116
        .size:           1
        .value_kind:     by_value
    .group_segment_fixed_size: 4352
    .kernarg_segment_align: 8
    .kernarg_segment_size: 120
    .language:       OpenCL C
    .language_version:
      - 2
      - 0
    .max_flat_workgroup_size: 256
    .name:           _ZN9rocsparseL39bsrgeam_wf_per_row_multipass_2_3_kernelILj256ELj2ELj64EfEEv20rocsparse_direction_iiiNS_24const_host_device_scalarIT2_EEPKiS6_PKS3_S4_S6_S6_S8_S6_PiPS3_21rocsparse_index_base_SB_SB_b
    .private_segment_fixed_size: 0
    .sgpr_count:     28
    .sgpr_spill_count: 0
    .symbol:         _ZN9rocsparseL39bsrgeam_wf_per_row_multipass_2_3_kernelILj256ELj2ELj64EfEEv20rocsparse_direction_iiiNS_24const_host_device_scalarIT2_EEPKiS6_PKS3_S4_S6_S6_S8_S6_PiPS3_21rocsparse_index_base_SB_SB_b.kd
    .uniform_work_group_size: 1
    .uses_dynamic_stack: false
    .vgpr_count:     40
    .vgpr_spill_count: 0
    .wavefront_size: 32
    .workgroup_processor_mode: 1
  - .args:
      - .offset:         0
        .size:           4
        .value_kind:     by_value
      - .offset:         4
        .size:           4
        .value_kind:     by_value
      - .offset:         8
        .size:           4
        .value_kind:     by_value
      - .offset:         12
        .size:           4
        .value_kind:     by_value
      - .offset:         16
        .size:           8
        .value_kind:     by_value
      - .actual_access:  read_only
        .address_space:  global
        .offset:         24
        .size:           8
        .value_kind:     global_buffer
      - .actual_access:  read_only
        .address_space:  global
        .offset:         32
        .size:           8
        .value_kind:     global_buffer
      - .actual_access:  read_only
        .address_space:  global
        .offset:         40
        .size:           8
        .value_kind:     global_buffer
      - .offset:         48
        .size:           8
        .value_kind:     by_value
      - .actual_access:  read_only
        .address_space:  global
        .offset:         56
        .size:           8
        .value_kind:     global_buffer
      - .actual_access:  read_only
        .address_space:  global
        .offset:         64
        .size:           8
        .value_kind:     global_buffer
      - .actual_access:  read_only
        .address_space:  global
        .offset:         72
        .size:           8
        .value_kind:     global_buffer
      - .actual_access:  read_only
        .address_space:  global
        .offset:         80
        .size:           8
        .value_kind:     global_buffer
      - .actual_access:  write_only
        .address_space:  global
        .offset:         88
        .size:           8
        .value_kind:     global_buffer
      - .actual_access:  write_only
        .address_space:  global
        .offset:         96
        .size:           8
        .value_kind:     global_buffer
      - .offset:         104
        .size:           4
        .value_kind:     by_value
      - .offset:         108
        .size:           4
        .value_kind:     by_value
      - .offset:         112
        .size:           4
        .value_kind:     by_value
      - .offset:         116
        .size:           1
        .value_kind:     by_value
    .group_segment_fixed_size: 9472
    .kernarg_segment_align: 8
    .kernarg_segment_size: 120
    .language:       OpenCL C
    .language_version:
      - 2
      - 0
    .max_flat_workgroup_size: 256
    .name:           _ZN9rocsparseL39bsrgeam_wf_per_row_multipass_2_3_kernelILj256ELj3ELj32EfEEv20rocsparse_direction_iiiNS_24const_host_device_scalarIT2_EEPKiS6_PKS3_S4_S6_S6_S8_S6_PiPS3_21rocsparse_index_base_SB_SB_b
    .private_segment_fixed_size: 0
    .sgpr_count:     28
    .sgpr_spill_count: 0
    .symbol:         _ZN9rocsparseL39bsrgeam_wf_per_row_multipass_2_3_kernelILj256ELj3ELj32EfEEv20rocsparse_direction_iiiNS_24const_host_device_scalarIT2_EEPKiS6_PKS3_S4_S6_S6_S8_S6_PiPS3_21rocsparse_index_base_SB_SB_b.kd
    .uniform_work_group_size: 1
    .uses_dynamic_stack: false
    .vgpr_count:     57
    .vgpr_spill_count: 0
    .wavefront_size: 32
    .workgroup_processor_mode: 1
  - .args:
      - .offset:         0
        .size:           4
        .value_kind:     by_value
      - .offset:         4
        .size:           4
        .value_kind:     by_value
      - .offset:         8
        .size:           4
        .value_kind:     by_value
      - .offset:         12
        .size:           4
        .value_kind:     by_value
      - .offset:         16
        .size:           8
        .value_kind:     by_value
      - .actual_access:  read_only
        .address_space:  global
        .offset:         24
        .size:           8
        .value_kind:     global_buffer
      - .actual_access:  read_only
        .address_space:  global
        .offset:         32
        .size:           8
        .value_kind:     global_buffer
      - .actual_access:  read_only
        .address_space:  global
        .offset:         40
        .size:           8
        .value_kind:     global_buffer
      - .offset:         48
        .size:           8
        .value_kind:     by_value
      - .actual_access:  read_only
        .address_space:  global
        .offset:         56
        .size:           8
        .value_kind:     global_buffer
      - .actual_access:  read_only
        .address_space:  global
        .offset:         64
        .size:           8
        .value_kind:     global_buffer
      - .actual_access:  read_only
        .address_space:  global
        .offset:         72
        .size:           8
        .value_kind:     global_buffer
      - .actual_access:  read_only
        .address_space:  global
        .offset:         80
        .size:           8
        .value_kind:     global_buffer
      - .actual_access:  write_only
        .address_space:  global
        .offset:         88
        .size:           8
        .value_kind:     global_buffer
      - .actual_access:  write_only
        .address_space:  global
        .offset:         96
        .size:           8
        .value_kind:     global_buffer
      - .offset:         104
        .size:           4
        .value_kind:     by_value
      - .offset:         108
        .size:           4
        .value_kind:     by_value
      - .offset:         112
        .size:           4
        .value_kind:     by_value
      - .offset:         116
        .size:           1
        .value_kind:     by_value
    .group_segment_fixed_size: 9472
    .kernarg_segment_align: 8
    .kernarg_segment_size: 120
    .language:       OpenCL C
    .language_version:
      - 2
      - 0
    .max_flat_workgroup_size: 256
    .name:           _ZN9rocsparseL39bsrgeam_wf_per_row_multipass_2_3_kernelILj256ELj3ELj64EfEEv20rocsparse_direction_iiiNS_24const_host_device_scalarIT2_EEPKiS6_PKS3_S4_S6_S6_S8_S6_PiPS3_21rocsparse_index_base_SB_SB_b
    .private_segment_fixed_size: 0
    .sgpr_count:     28
    .sgpr_spill_count: 0
    .symbol:         _ZN9rocsparseL39bsrgeam_wf_per_row_multipass_2_3_kernelILj256ELj3ELj64EfEEv20rocsparse_direction_iiiNS_24const_host_device_scalarIT2_EEPKiS6_PKS3_S4_S6_S6_S8_S6_PiPS3_21rocsparse_index_base_SB_SB_b.kd
    .uniform_work_group_size: 1
    .uses_dynamic_stack: false
    .vgpr_count:     59
    .vgpr_spill_count: 0
    .wavefront_size: 32
    .workgroup_processor_mode: 1
  - .args:
      - .offset:         0
        .size:           4
        .value_kind:     by_value
      - .offset:         4
        .size:           4
        .value_kind:     by_value
      - .offset:         8
        .size:           4
        .value_kind:     by_value
      - .offset:         12
        .size:           4
        .value_kind:     by_value
      - .offset:         16
        .size:           8
        .value_kind:     by_value
      - .actual_access:  read_only
        .address_space:  global
        .offset:         24
        .size:           8
        .value_kind:     global_buffer
      - .actual_access:  read_only
        .address_space:  global
        .offset:         32
        .size:           8
        .value_kind:     global_buffer
      - .actual_access:  read_only
        .address_space:  global
        .offset:         40
        .size:           8
        .value_kind:     global_buffer
      - .offset:         48
        .size:           8
        .value_kind:     by_value
      - .actual_access:  read_only
        .address_space:  global
        .offset:         56
        .size:           8
        .value_kind:     global_buffer
      - .actual_access:  read_only
        .address_space:  global
        .offset:         64
        .size:           8
        .value_kind:     global_buffer
      - .actual_access:  read_only
        .address_space:  global
        .offset:         72
        .size:           8
        .value_kind:     global_buffer
      - .actual_access:  read_only
        .address_space:  global
        .offset:         80
        .size:           8
        .value_kind:     global_buffer
      - .actual_access:  write_only
        .address_space:  global
        .offset:         88
        .size:           8
        .value_kind:     global_buffer
      - .actual_access:  write_only
        .address_space:  global
        .offset:         96
        .size:           8
        .value_kind:     global_buffer
      - .offset:         104
        .size:           4
        .value_kind:     by_value
      - .offset:         108
        .size:           4
        .value_kind:     by_value
      - .offset:         112
        .size:           4
        .value_kind:     by_value
      - .offset:         116
        .size:           1
        .value_kind:     by_value
    .group_segment_fixed_size: 288
    .kernarg_segment_align: 8
    .kernarg_segment_size: 120
    .language:       OpenCL C
    .language_version:
      - 2
      - 0
    .max_flat_workgroup_size: 64
    .name:           _ZN9rocsparseL35bsrgeam_wf_per_row_multipass_kernelILj64ELj4EfEEv20rocsparse_direction_iiiNS_24const_host_device_scalarIT1_EEPKiS6_PKS3_S4_S6_S6_S8_S6_PiPS3_21rocsparse_index_base_SB_SB_b
    .private_segment_fixed_size: 0
    .sgpr_count:     32
    .sgpr_spill_count: 0
    .symbol:         _ZN9rocsparseL35bsrgeam_wf_per_row_multipass_kernelILj64ELj4EfEEv20rocsparse_direction_iiiNS_24const_host_device_scalarIT1_EEPKiS6_PKS3_S4_S6_S6_S8_S6_PiPS3_21rocsparse_index_base_SB_SB_b.kd
    .uniform_work_group_size: 1
    .uses_dynamic_stack: false
    .vgpr_count:     28
    .vgpr_spill_count: 0
    .wavefront_size: 32
    .workgroup_processor_mode: 1
  - .args:
      - .offset:         0
        .size:           4
        .value_kind:     by_value
      - .offset:         4
        .size:           4
        .value_kind:     by_value
      - .offset:         8
        .size:           4
        .value_kind:     by_value
      - .offset:         12
        .size:           4
        .value_kind:     by_value
      - .offset:         16
        .size:           8
        .value_kind:     by_value
      - .actual_access:  read_only
        .address_space:  global
        .offset:         24
        .size:           8
        .value_kind:     global_buffer
      - .actual_access:  read_only
        .address_space:  global
        .offset:         32
        .size:           8
        .value_kind:     global_buffer
      - .actual_access:  read_only
        .address_space:  global
        .offset:         40
        .size:           8
        .value_kind:     global_buffer
      - .offset:         48
        .size:           8
        .value_kind:     by_value
      - .actual_access:  read_only
        .address_space:  global
        .offset:         56
        .size:           8
        .value_kind:     global_buffer
      - .actual_access:  read_only
        .address_space:  global
        .offset:         64
        .size:           8
        .value_kind:     global_buffer
      - .actual_access:  read_only
        .address_space:  global
        .offset:         72
        .size:           8
        .value_kind:     global_buffer
      - .actual_access:  read_only
        .address_space:  global
        .offset:         80
        .size:           8
        .value_kind:     global_buffer
      - .actual_access:  write_only
        .address_space:  global
        .offset:         88
        .size:           8
        .value_kind:     global_buffer
      - .actual_access:  write_only
        .address_space:  global
        .offset:         96
        .size:           8
        .value_kind:     global_buffer
      - .offset:         104
        .size:           4
        .value_kind:     by_value
      - .offset:         108
        .size:           4
        .value_kind:     by_value
      - .offset:         112
        .size:           4
        .value_kind:     by_value
      - .offset:         116
        .size:           1
        .value_kind:     by_value
    .group_segment_fixed_size: 264
    .kernarg_segment_align: 8
    .kernarg_segment_size: 120
    .language:       OpenCL C
    .language_version:
      - 2
      - 0
    .max_flat_workgroup_size: 64
    .name:           _ZN9rocsparseL35bsrgeam_wf_per_row_multipass_kernelILj64ELj8EfEEv20rocsparse_direction_iiiNS_24const_host_device_scalarIT1_EEPKiS6_PKS3_S4_S6_S6_S8_S6_PiPS3_21rocsparse_index_base_SB_SB_b
    .private_segment_fixed_size: 0
    .sgpr_count:     30
    .sgpr_spill_count: 0
    .symbol:         _ZN9rocsparseL35bsrgeam_wf_per_row_multipass_kernelILj64ELj8EfEEv20rocsparse_direction_iiiNS_24const_host_device_scalarIT1_EEPKiS6_PKS3_S4_S6_S6_S8_S6_PiPS3_21rocsparse_index_base_SB_SB_b.kd
    .uniform_work_group_size: 1
    .uses_dynamic_stack: false
    .vgpr_count:     27
    .vgpr_spill_count: 0
    .wavefront_size: 32
    .workgroup_processor_mode: 1
  - .args:
      - .offset:         0
        .size:           4
        .value_kind:     by_value
      - .offset:         4
        .size:           4
        .value_kind:     by_value
      - .offset:         8
        .size:           4
        .value_kind:     by_value
      - .offset:         12
        .size:           4
        .value_kind:     by_value
      - .offset:         16
        .size:           8
        .value_kind:     by_value
      - .actual_access:  read_only
        .address_space:  global
        .offset:         24
        .size:           8
        .value_kind:     global_buffer
      - .actual_access:  read_only
        .address_space:  global
        .offset:         32
        .size:           8
        .value_kind:     global_buffer
      - .actual_access:  read_only
        .address_space:  global
        .offset:         40
        .size:           8
        .value_kind:     global_buffer
      - .offset:         48
        .size:           8
        .value_kind:     by_value
      - .actual_access:  read_only
        .address_space:  global
        .offset:         56
        .size:           8
        .value_kind:     global_buffer
      - .actual_access:  read_only
        .address_space:  global
        .offset:         64
        .size:           8
        .value_kind:     global_buffer
      - .actual_access:  read_only
        .address_space:  global
        .offset:         72
        .size:           8
        .value_kind:     global_buffer
      - .actual_access:  read_only
        .address_space:  global
        .offset:         80
        .size:           8
        .value_kind:     global_buffer
      - .actual_access:  write_only
        .address_space:  global
        .offset:         88
        .size:           8
        .value_kind:     global_buffer
      - .actual_access:  write_only
        .address_space:  global
        .offset:         96
        .size:           8
        .value_kind:     global_buffer
      - .offset:         104
        .size:           4
        .value_kind:     by_value
      - .offset:         108
        .size:           4
        .value_kind:     by_value
      - .offset:         112
        .size:           4
        .value_kind:     by_value
      - .offset:         116
        .size:           1
        .value_kind:     by_value
    .group_segment_fixed_size: 1028
    .kernarg_segment_align: 8
    .kernarg_segment_size: 120
    .language:       OpenCL C
    .language_version:
      - 2
      - 0
    .max_flat_workgroup_size: 256
    .name:           _ZN9rocsparseL39bsrgeam_block_per_row_multipass_kernel2ILj256ELj16EfEEv20rocsparse_direction_iiiNS_24const_host_device_scalarIT1_EEPKiS6_PKS3_S4_S6_S6_S8_S6_PiPS3_21rocsparse_index_base_SB_SB_b
    .private_segment_fixed_size: 0
    .sgpr_count:     39
    .sgpr_spill_count: 0
    .symbol:         _ZN9rocsparseL39bsrgeam_block_per_row_multipass_kernel2ILj256ELj16EfEEv20rocsparse_direction_iiiNS_24const_host_device_scalarIT1_EEPKiS6_PKS3_S4_S6_S6_S8_S6_PiPS3_21rocsparse_index_base_SB_SB_b.kd
    .uniform_work_group_size: 1
    .uses_dynamic_stack: false
    .vgpr_count:     12
    .vgpr_spill_count: 0
    .wavefront_size: 32
    .workgroup_processor_mode: 1
  - .args:
      - .offset:         0
        .size:           4
        .value_kind:     by_value
      - .offset:         4
        .size:           4
        .value_kind:     by_value
      - .offset:         8
        .size:           4
        .value_kind:     by_value
      - .offset:         12
        .size:           4
        .value_kind:     by_value
      - .offset:         16
        .size:           8
        .value_kind:     by_value
      - .actual_access:  read_only
        .address_space:  global
        .offset:         24
        .size:           8
        .value_kind:     global_buffer
      - .actual_access:  read_only
        .address_space:  global
        .offset:         32
        .size:           8
        .value_kind:     global_buffer
      - .actual_access:  read_only
        .address_space:  global
        .offset:         40
        .size:           8
        .value_kind:     global_buffer
      - .offset:         48
        .size:           8
        .value_kind:     by_value
      - .actual_access:  read_only
        .address_space:  global
        .offset:         56
        .size:           8
        .value_kind:     global_buffer
      - .actual_access:  read_only
        .address_space:  global
        .offset:         64
        .size:           8
        .value_kind:     global_buffer
      - .actual_access:  read_only
        .address_space:  global
        .offset:         72
        .size:           8
        .value_kind:     global_buffer
      - .actual_access:  read_only
        .address_space:  global
        .offset:         80
        .size:           8
        .value_kind:     global_buffer
      - .actual_access:  write_only
        .address_space:  global
        .offset:         88
        .size:           8
        .value_kind:     global_buffer
      - .actual_access:  write_only
        .address_space:  global
        .offset:         96
        .size:           8
        .value_kind:     global_buffer
      - .offset:         104
        .size:           4
        .value_kind:     by_value
      - .offset:         108
        .size:           4
        .value_kind:     by_value
      - .offset:         112
        .size:           4
        .value_kind:     by_value
      - .offset:         116
        .size:           1
        .value_kind:     by_value
    .group_segment_fixed_size: 4100
    .kernarg_segment_align: 8
    .kernarg_segment_size: 120
    .language:       OpenCL C
    .language_version:
      - 2
      - 0
    .max_flat_workgroup_size: 256
    .name:           _ZN9rocsparseL39bsrgeam_block_per_row_multipass_kernel2ILj256ELj32EfEEv20rocsparse_direction_iiiNS_24const_host_device_scalarIT1_EEPKiS6_PKS3_S4_S6_S6_S8_S6_PiPS3_21rocsparse_index_base_SB_SB_b
    .private_segment_fixed_size: 0
    .sgpr_count:     42
    .sgpr_spill_count: 0
    .symbol:         _ZN9rocsparseL39bsrgeam_block_per_row_multipass_kernel2ILj256ELj32EfEEv20rocsparse_direction_iiiNS_24const_host_device_scalarIT1_EEPKiS6_PKS3_S4_S6_S6_S8_S6_PiPS3_21rocsparse_index_base_SB_SB_b.kd
    .uniform_work_group_size: 1
    .uses_dynamic_stack: false
    .vgpr_count:     24
    .vgpr_spill_count: 0
    .wavefront_size: 32
    .workgroup_processor_mode: 1
  - .args:
      - .offset:         0
        .size:           4
        .value_kind:     by_value
      - .offset:         4
        .size:           4
        .value_kind:     by_value
      - .offset:         8
        .size:           4
        .value_kind:     by_value
      - .offset:         12
        .size:           4
        .value_kind:     by_value
      - .offset:         16
        .size:           8
        .value_kind:     by_value
      - .actual_access:  read_only
        .address_space:  global
        .offset:         24
        .size:           8
        .value_kind:     global_buffer
      - .actual_access:  read_only
        .address_space:  global
        .offset:         32
        .size:           8
        .value_kind:     global_buffer
      - .actual_access:  read_only
        .address_space:  global
        .offset:         40
        .size:           8
        .value_kind:     global_buffer
      - .offset:         48
        .size:           8
        .value_kind:     by_value
      - .actual_access:  read_only
        .address_space:  global
        .offset:         56
        .size:           8
        .value_kind:     global_buffer
      - .actual_access:  read_only
        .address_space:  global
        .offset:         64
        .size:           8
        .value_kind:     global_buffer
      - .actual_access:  read_only
        .address_space:  global
        .offset:         72
        .size:           8
        .value_kind:     global_buffer
      - .actual_access:  read_only
        .address_space:  global
        .offset:         80
        .size:           8
        .value_kind:     global_buffer
      - .actual_access:  write_only
        .address_space:  global
        .offset:         88
        .size:           8
        .value_kind:     global_buffer
      - .actual_access:  write_only
        .address_space:  global
        .offset:         96
        .size:           8
        .value_kind:     global_buffer
      - .offset:         104
        .size:           4
        .value_kind:     by_value
      - .offset:         108
        .size:           4
        .value_kind:     by_value
      - .offset:         112
        .size:           4
        .value_kind:     by_value
      - .offset:         116
        .size:           1
        .value_kind:     by_value
    .group_segment_fixed_size: 8448
    .kernarg_segment_align: 8
    .kernarg_segment_size: 120
    .language:       OpenCL C
    .language_version:
      - 2
      - 0
    .max_flat_workgroup_size: 256
    .name:           _ZN9rocsparseL39bsrgeam_wf_per_row_multipass_2_3_kernelILj256ELj2ELj32EdEEv20rocsparse_direction_iiiNS_24const_host_device_scalarIT2_EEPKiS6_PKS3_S4_S6_S6_S8_S6_PiPS3_21rocsparse_index_base_SB_SB_b
    .private_segment_fixed_size: 0
    .sgpr_count:     29
    .sgpr_spill_count: 0
    .symbol:         _ZN9rocsparseL39bsrgeam_wf_per_row_multipass_2_3_kernelILj256ELj2ELj32EdEEv20rocsparse_direction_iiiNS_24const_host_device_scalarIT2_EEPKiS6_PKS3_S4_S6_S6_S8_S6_PiPS3_21rocsparse_index_base_SB_SB_b.kd
    .uniform_work_group_size: 1
    .uses_dynamic_stack: false
    .vgpr_count:     47
    .vgpr_spill_count: 0
    .wavefront_size: 32
    .workgroup_processor_mode: 1
  - .args:
      - .offset:         0
        .size:           4
        .value_kind:     by_value
      - .offset:         4
        .size:           4
        .value_kind:     by_value
      - .offset:         8
        .size:           4
        .value_kind:     by_value
      - .offset:         12
        .size:           4
        .value_kind:     by_value
      - .offset:         16
        .size:           8
        .value_kind:     by_value
      - .actual_access:  read_only
        .address_space:  global
        .offset:         24
        .size:           8
        .value_kind:     global_buffer
      - .actual_access:  read_only
        .address_space:  global
        .offset:         32
        .size:           8
        .value_kind:     global_buffer
      - .actual_access:  read_only
        .address_space:  global
        .offset:         40
        .size:           8
        .value_kind:     global_buffer
      - .offset:         48
        .size:           8
        .value_kind:     by_value
      - .actual_access:  read_only
        .address_space:  global
        .offset:         56
        .size:           8
        .value_kind:     global_buffer
      - .actual_access:  read_only
        .address_space:  global
        .offset:         64
        .size:           8
        .value_kind:     global_buffer
      - .actual_access:  read_only
        .address_space:  global
        .offset:         72
        .size:           8
        .value_kind:     global_buffer
      - .actual_access:  read_only
        .address_space:  global
        .offset:         80
        .size:           8
        .value_kind:     global_buffer
      - .actual_access:  write_only
        .address_space:  global
        .offset:         88
        .size:           8
        .value_kind:     global_buffer
      - .actual_access:  write_only
        .address_space:  global
        .offset:         96
        .size:           8
        .value_kind:     global_buffer
      - .offset:         104
        .size:           4
        .value_kind:     by_value
      - .offset:         108
        .size:           4
        .value_kind:     by_value
      - .offset:         112
        .size:           4
        .value_kind:     by_value
      - .offset:         116
        .size:           1
        .value_kind:     by_value
    .group_segment_fixed_size: 8448
    .kernarg_segment_align: 8
    .kernarg_segment_size: 120
    .language:       OpenCL C
    .language_version:
      - 2
      - 0
    .max_flat_workgroup_size: 256
    .name:           _ZN9rocsparseL39bsrgeam_wf_per_row_multipass_2_3_kernelILj256ELj2ELj64EdEEv20rocsparse_direction_iiiNS_24const_host_device_scalarIT2_EEPKiS6_PKS3_S4_S6_S6_S8_S6_PiPS3_21rocsparse_index_base_SB_SB_b
    .private_segment_fixed_size: 0
    .sgpr_count:     29
    .sgpr_spill_count: 0
    .symbol:         _ZN9rocsparseL39bsrgeam_wf_per_row_multipass_2_3_kernelILj256ELj2ELj64EdEEv20rocsparse_direction_iiiNS_24const_host_device_scalarIT2_EEPKiS6_PKS3_S4_S6_S6_S8_S6_PiPS3_21rocsparse_index_base_SB_SB_b.kd
    .uniform_work_group_size: 1
    .uses_dynamic_stack: false
    .vgpr_count:     48
    .vgpr_spill_count: 0
    .wavefront_size: 32
    .workgroup_processor_mode: 1
  - .args:
      - .offset:         0
        .size:           4
        .value_kind:     by_value
      - .offset:         4
        .size:           4
        .value_kind:     by_value
      - .offset:         8
        .size:           4
        .value_kind:     by_value
      - .offset:         12
        .size:           4
        .value_kind:     by_value
      - .offset:         16
        .size:           8
        .value_kind:     by_value
      - .actual_access:  read_only
        .address_space:  global
        .offset:         24
        .size:           8
        .value_kind:     global_buffer
      - .actual_access:  read_only
        .address_space:  global
        .offset:         32
        .size:           8
        .value_kind:     global_buffer
      - .actual_access:  read_only
        .address_space:  global
        .offset:         40
        .size:           8
        .value_kind:     global_buffer
      - .offset:         48
        .size:           8
        .value_kind:     by_value
      - .actual_access:  read_only
        .address_space:  global
        .offset:         56
        .size:           8
        .value_kind:     global_buffer
      - .actual_access:  read_only
        .address_space:  global
        .offset:         64
        .size:           8
        .value_kind:     global_buffer
      - .actual_access:  read_only
        .address_space:  global
        .offset:         72
        .size:           8
        .value_kind:     global_buffer
      - .actual_access:  read_only
        .address_space:  global
        .offset:         80
        .size:           8
        .value_kind:     global_buffer
      - .actual_access:  write_only
        .address_space:  global
        .offset:         88
        .size:           8
        .value_kind:     global_buffer
      - .actual_access:  write_only
        .address_space:  global
        .offset:         96
        .size:           8
        .value_kind:     global_buffer
      - .offset:         104
        .size:           4
        .value_kind:     by_value
      - .offset:         108
        .size:           4
        .value_kind:     by_value
      - .offset:         112
        .size:           4
        .value_kind:     by_value
      - .offset:         116
        .size:           1
        .value_kind:     by_value
    .group_segment_fixed_size: 18688
    .kernarg_segment_align: 8
    .kernarg_segment_size: 120
    .language:       OpenCL C
    .language_version:
      - 2
      - 0
    .max_flat_workgroup_size: 256
    .name:           _ZN9rocsparseL39bsrgeam_wf_per_row_multipass_2_3_kernelILj256ELj3ELj32EdEEv20rocsparse_direction_iiiNS_24const_host_device_scalarIT2_EEPKiS6_PKS3_S4_S6_S6_S8_S6_PiPS3_21rocsparse_index_base_SB_SB_b
    .private_segment_fixed_size: 0
    .sgpr_count:     30
    .sgpr_spill_count: 0
    .symbol:         _ZN9rocsparseL39bsrgeam_wf_per_row_multipass_2_3_kernelILj256ELj3ELj32EdEEv20rocsparse_direction_iiiNS_24const_host_device_scalarIT2_EEPKiS6_PKS3_S4_S6_S6_S8_S6_PiPS3_21rocsparse_index_base_SB_SB_b.kd
    .uniform_work_group_size: 1
    .uses_dynamic_stack: false
    .vgpr_count:     78
    .vgpr_spill_count: 0
    .wavefront_size: 32
    .workgroup_processor_mode: 1
  - .args:
      - .offset:         0
        .size:           4
        .value_kind:     by_value
      - .offset:         4
        .size:           4
        .value_kind:     by_value
      - .offset:         8
        .size:           4
        .value_kind:     by_value
      - .offset:         12
        .size:           4
        .value_kind:     by_value
      - .offset:         16
        .size:           8
        .value_kind:     by_value
      - .actual_access:  read_only
        .address_space:  global
        .offset:         24
        .size:           8
        .value_kind:     global_buffer
      - .actual_access:  read_only
        .address_space:  global
        .offset:         32
        .size:           8
        .value_kind:     global_buffer
      - .actual_access:  read_only
        .address_space:  global
        .offset:         40
        .size:           8
        .value_kind:     global_buffer
      - .offset:         48
        .size:           8
        .value_kind:     by_value
      - .actual_access:  read_only
        .address_space:  global
        .offset:         56
        .size:           8
        .value_kind:     global_buffer
      - .actual_access:  read_only
        .address_space:  global
        .offset:         64
        .size:           8
        .value_kind:     global_buffer
      - .actual_access:  read_only
        .address_space:  global
        .offset:         72
        .size:           8
        .value_kind:     global_buffer
      - .actual_access:  read_only
        .address_space:  global
        .offset:         80
        .size:           8
        .value_kind:     global_buffer
      - .actual_access:  write_only
        .address_space:  global
        .offset:         88
        .size:           8
        .value_kind:     global_buffer
      - .actual_access:  write_only
        .address_space:  global
        .offset:         96
        .size:           8
        .value_kind:     global_buffer
      - .offset:         104
        .size:           4
        .value_kind:     by_value
      - .offset:         108
        .size:           4
        .value_kind:     by_value
      - .offset:         112
        .size:           4
        .value_kind:     by_value
      - .offset:         116
        .size:           1
        .value_kind:     by_value
    .group_segment_fixed_size: 18688
    .kernarg_segment_align: 8
    .kernarg_segment_size: 120
    .language:       OpenCL C
    .language_version:
      - 2
      - 0
    .max_flat_workgroup_size: 256
    .name:           _ZN9rocsparseL39bsrgeam_wf_per_row_multipass_2_3_kernelILj256ELj3ELj64EdEEv20rocsparse_direction_iiiNS_24const_host_device_scalarIT2_EEPKiS6_PKS3_S4_S6_S6_S8_S6_PiPS3_21rocsparse_index_base_SB_SB_b
    .private_segment_fixed_size: 0
    .sgpr_count:     30
    .sgpr_spill_count: 0
    .symbol:         _ZN9rocsparseL39bsrgeam_wf_per_row_multipass_2_3_kernelILj256ELj3ELj64EdEEv20rocsparse_direction_iiiNS_24const_host_device_scalarIT2_EEPKiS6_PKS3_S4_S6_S6_S8_S6_PiPS3_21rocsparse_index_base_SB_SB_b.kd
    .uniform_work_group_size: 1
    .uses_dynamic_stack: false
    .vgpr_count:     80
    .vgpr_spill_count: 0
    .wavefront_size: 32
    .workgroup_processor_mode: 1
  - .args:
      - .offset:         0
        .size:           4
        .value_kind:     by_value
      - .offset:         4
        .size:           4
        .value_kind:     by_value
      - .offset:         8
        .size:           4
        .value_kind:     by_value
      - .offset:         12
        .size:           4
        .value_kind:     by_value
      - .offset:         16
        .size:           8
        .value_kind:     by_value
      - .actual_access:  read_only
        .address_space:  global
        .offset:         24
        .size:           8
        .value_kind:     global_buffer
      - .actual_access:  read_only
        .address_space:  global
        .offset:         32
        .size:           8
        .value_kind:     global_buffer
      - .actual_access:  read_only
        .address_space:  global
        .offset:         40
        .size:           8
        .value_kind:     global_buffer
      - .offset:         48
        .size:           8
        .value_kind:     by_value
      - .actual_access:  read_only
        .address_space:  global
        .offset:         56
        .size:           8
        .value_kind:     global_buffer
      - .actual_access:  read_only
        .address_space:  global
        .offset:         64
        .size:           8
        .value_kind:     global_buffer
      - .actual_access:  read_only
        .address_space:  global
        .offset:         72
        .size:           8
        .value_kind:     global_buffer
      - .actual_access:  read_only
        .address_space:  global
        .offset:         80
        .size:           8
        .value_kind:     global_buffer
      - .actual_access:  write_only
        .address_space:  global
        .offset:         88
        .size:           8
        .value_kind:     global_buffer
      - .actual_access:  write_only
        .address_space:  global
        .offset:         96
        .size:           8
        .value_kind:     global_buffer
      - .offset:         104
        .size:           4
        .value_kind:     by_value
      - .offset:         108
        .size:           4
        .value_kind:     by_value
      - .offset:         112
        .size:           4
        .value_kind:     by_value
      - .offset:         116
        .size:           1
        .value_kind:     by_value
    .group_segment_fixed_size: 544
    .kernarg_segment_align: 8
    .kernarg_segment_size: 120
    .language:       OpenCL C
    .language_version:
      - 2
      - 0
    .max_flat_workgroup_size: 64
    .name:           _ZN9rocsparseL35bsrgeam_wf_per_row_multipass_kernelILj64ELj4EdEEv20rocsparse_direction_iiiNS_24const_host_device_scalarIT1_EEPKiS6_PKS3_S4_S6_S6_S8_S6_PiPS3_21rocsparse_index_base_SB_SB_b
    .private_segment_fixed_size: 0
    .sgpr_count:     30
    .sgpr_spill_count: 0
    .symbol:         _ZN9rocsparseL35bsrgeam_wf_per_row_multipass_kernelILj64ELj4EdEEv20rocsparse_direction_iiiNS_24const_host_device_scalarIT1_EEPKiS6_PKS3_S4_S6_S6_S8_S6_PiPS3_21rocsparse_index_base_SB_SB_b.kd
    .uniform_work_group_size: 1
    .uses_dynamic_stack: false
    .vgpr_count:     35
    .vgpr_spill_count: 0
    .wavefront_size: 32
    .workgroup_processor_mode: 1
  - .args:
      - .offset:         0
        .size:           4
        .value_kind:     by_value
      - .offset:         4
        .size:           4
        .value_kind:     by_value
      - .offset:         8
        .size:           4
        .value_kind:     by_value
      - .offset:         12
        .size:           4
        .value_kind:     by_value
      - .offset:         16
        .size:           8
        .value_kind:     by_value
      - .actual_access:  read_only
        .address_space:  global
        .offset:         24
        .size:           8
        .value_kind:     global_buffer
      - .actual_access:  read_only
        .address_space:  global
        .offset:         32
        .size:           8
        .value_kind:     global_buffer
      - .actual_access:  read_only
        .address_space:  global
        .offset:         40
        .size:           8
        .value_kind:     global_buffer
      - .offset:         48
        .size:           8
        .value_kind:     by_value
      - .actual_access:  read_only
        .address_space:  global
        .offset:         56
        .size:           8
        .value_kind:     global_buffer
      - .actual_access:  read_only
        .address_space:  global
        .offset:         64
        .size:           8
        .value_kind:     global_buffer
      - .actual_access:  read_only
        .address_space:  global
        .offset:         72
        .size:           8
        .value_kind:     global_buffer
      - .actual_access:  read_only
        .address_space:  global
        .offset:         80
        .size:           8
        .value_kind:     global_buffer
      - .actual_access:  write_only
        .address_space:  global
        .offset:         88
        .size:           8
        .value_kind:     global_buffer
      - .actual_access:  write_only
        .address_space:  global
        .offset:         96
        .size:           8
        .value_kind:     global_buffer
      - .offset:         104
        .size:           4
        .value_kind:     by_value
      - .offset:         108
        .size:           4
        .value_kind:     by_value
      - .offset:         112
        .size:           4
        .value_kind:     by_value
      - .offset:         116
        .size:           1
        .value_kind:     by_value
    .group_segment_fixed_size: 520
    .kernarg_segment_align: 8
    .kernarg_segment_size: 120
    .language:       OpenCL C
    .language_version:
      - 2
      - 0
    .max_flat_workgroup_size: 64
    .name:           _ZN9rocsparseL35bsrgeam_wf_per_row_multipass_kernelILj64ELj8EdEEv20rocsparse_direction_iiiNS_24const_host_device_scalarIT1_EEPKiS6_PKS3_S4_S6_S6_S8_S6_PiPS3_21rocsparse_index_base_SB_SB_b
    .private_segment_fixed_size: 0
    .sgpr_count:     28
    .sgpr_spill_count: 0
    .symbol:         _ZN9rocsparseL35bsrgeam_wf_per_row_multipass_kernelILj64ELj8EdEEv20rocsparse_direction_iiiNS_24const_host_device_scalarIT1_EEPKiS6_PKS3_S4_S6_S6_S8_S6_PiPS3_21rocsparse_index_base_SB_SB_b.kd
    .uniform_work_group_size: 1
    .uses_dynamic_stack: false
    .vgpr_count:     34
    .vgpr_spill_count: 0
    .wavefront_size: 32
    .workgroup_processor_mode: 1
  - .args:
      - .offset:         0
        .size:           4
        .value_kind:     by_value
      - .offset:         4
        .size:           4
        .value_kind:     by_value
      - .offset:         8
        .size:           4
        .value_kind:     by_value
      - .offset:         12
        .size:           4
        .value_kind:     by_value
      - .offset:         16
        .size:           8
        .value_kind:     by_value
      - .actual_access:  read_only
        .address_space:  global
        .offset:         24
        .size:           8
        .value_kind:     global_buffer
      - .actual_access:  read_only
        .address_space:  global
        .offset:         32
        .size:           8
        .value_kind:     global_buffer
      - .actual_access:  read_only
        .address_space:  global
        .offset:         40
        .size:           8
        .value_kind:     global_buffer
      - .offset:         48
        .size:           8
        .value_kind:     by_value
      - .actual_access:  read_only
        .address_space:  global
        .offset:         56
        .size:           8
        .value_kind:     global_buffer
      - .actual_access:  read_only
        .address_space:  global
        .offset:         64
        .size:           8
        .value_kind:     global_buffer
      - .actual_access:  read_only
        .address_space:  global
        .offset:         72
        .size:           8
        .value_kind:     global_buffer
      - .actual_access:  read_only
        .address_space:  global
        .offset:         80
        .size:           8
        .value_kind:     global_buffer
      - .actual_access:  write_only
        .address_space:  global
        .offset:         88
        .size:           8
        .value_kind:     global_buffer
      - .actual_access:  write_only
        .address_space:  global
        .offset:         96
        .size:           8
        .value_kind:     global_buffer
      - .offset:         104
        .size:           4
        .value_kind:     by_value
      - .offset:         108
        .size:           4
        .value_kind:     by_value
      - .offset:         112
        .size:           4
        .value_kind:     by_value
      - .offset:         116
        .size:           1
        .value_kind:     by_value
    .group_segment_fixed_size: 2056
    .kernarg_segment_align: 8
    .kernarg_segment_size: 120
    .language:       OpenCL C
    .language_version:
      - 2
      - 0
    .max_flat_workgroup_size: 256
    .name:           _ZN9rocsparseL39bsrgeam_block_per_row_multipass_kernel2ILj256ELj16EdEEv20rocsparse_direction_iiiNS_24const_host_device_scalarIT1_EEPKiS6_PKS3_S4_S6_S6_S8_S6_PiPS3_21rocsparse_index_base_SB_SB_b
    .private_segment_fixed_size: 0
    .sgpr_count:     37
    .sgpr_spill_count: 0
    .symbol:         _ZN9rocsparseL39bsrgeam_block_per_row_multipass_kernel2ILj256ELj16EdEEv20rocsparse_direction_iiiNS_24const_host_device_scalarIT1_EEPKiS6_PKS3_S4_S6_S6_S8_S6_PiPS3_21rocsparse_index_base_SB_SB_b.kd
    .uniform_work_group_size: 1
    .uses_dynamic_stack: false
    .vgpr_count:     20
    .vgpr_spill_count: 0
    .wavefront_size: 32
    .workgroup_processor_mode: 1
  - .args:
      - .offset:         0
        .size:           4
        .value_kind:     by_value
      - .offset:         4
        .size:           4
        .value_kind:     by_value
      - .offset:         8
        .size:           4
        .value_kind:     by_value
      - .offset:         12
        .size:           4
        .value_kind:     by_value
      - .offset:         16
        .size:           8
        .value_kind:     by_value
      - .actual_access:  read_only
        .address_space:  global
        .offset:         24
        .size:           8
        .value_kind:     global_buffer
      - .actual_access:  read_only
        .address_space:  global
        .offset:         32
        .size:           8
        .value_kind:     global_buffer
      - .actual_access:  read_only
        .address_space:  global
        .offset:         40
        .size:           8
        .value_kind:     global_buffer
      - .offset:         48
        .size:           8
        .value_kind:     by_value
      - .actual_access:  read_only
        .address_space:  global
        .offset:         56
        .size:           8
        .value_kind:     global_buffer
      - .actual_access:  read_only
        .address_space:  global
        .offset:         64
        .size:           8
        .value_kind:     global_buffer
      - .actual_access:  read_only
        .address_space:  global
        .offset:         72
        .size:           8
        .value_kind:     global_buffer
      - .actual_access:  read_only
        .address_space:  global
        .offset:         80
        .size:           8
        .value_kind:     global_buffer
      - .actual_access:  write_only
        .address_space:  global
        .offset:         88
        .size:           8
        .value_kind:     global_buffer
      - .actual_access:  write_only
        .address_space:  global
        .offset:         96
        .size:           8
        .value_kind:     global_buffer
      - .offset:         104
        .size:           4
        .value_kind:     by_value
      - .offset:         108
        .size:           4
        .value_kind:     by_value
      - .offset:         112
        .size:           4
        .value_kind:     by_value
      - .offset:         116
        .size:           1
        .value_kind:     by_value
    .group_segment_fixed_size: 8200
    .kernarg_segment_align: 8
    .kernarg_segment_size: 120
    .language:       OpenCL C
    .language_version:
      - 2
      - 0
    .max_flat_workgroup_size: 256
    .name:           _ZN9rocsparseL39bsrgeam_block_per_row_multipass_kernel2ILj256ELj32EdEEv20rocsparse_direction_iiiNS_24const_host_device_scalarIT1_EEPKiS6_PKS3_S4_S6_S6_S8_S6_PiPS3_21rocsparse_index_base_SB_SB_b
    .private_segment_fixed_size: 0
    .sgpr_count:     40
    .sgpr_spill_count: 0
    .symbol:         _ZN9rocsparseL39bsrgeam_block_per_row_multipass_kernel2ILj256ELj32EdEEv20rocsparse_direction_iiiNS_24const_host_device_scalarIT1_EEPKiS6_PKS3_S4_S6_S6_S8_S6_PiPS3_21rocsparse_index_base_SB_SB_b.kd
    .uniform_work_group_size: 1
    .uses_dynamic_stack: false
    .vgpr_count:     32
    .vgpr_spill_count: 0
    .wavefront_size: 32
    .workgroup_processor_mode: 1
  - .args:
      - .offset:         0
        .size:           4
        .value_kind:     by_value
      - .offset:         4
        .size:           4
        .value_kind:     by_value
      - .offset:         8
        .size:           4
        .value_kind:     by_value
      - .offset:         12
        .size:           4
        .value_kind:     by_value
      - .offset:         16
        .size:           8
        .value_kind:     by_value
      - .actual_access:  read_only
        .address_space:  global
        .offset:         24
        .size:           8
        .value_kind:     global_buffer
      - .actual_access:  read_only
        .address_space:  global
        .offset:         32
        .size:           8
        .value_kind:     global_buffer
      - .actual_access:  read_only
        .address_space:  global
        .offset:         40
        .size:           8
        .value_kind:     global_buffer
      - .offset:         48
        .size:           8
        .value_kind:     by_value
      - .actual_access:  read_only
        .address_space:  global
        .offset:         56
        .size:           8
        .value_kind:     global_buffer
      - .actual_access:  read_only
        .address_space:  global
        .offset:         64
        .size:           8
        .value_kind:     global_buffer
      - .actual_access:  read_only
        .address_space:  global
        .offset:         72
        .size:           8
        .value_kind:     global_buffer
      - .actual_access:  read_only
        .address_space:  global
        .offset:         80
        .size:           8
        .value_kind:     global_buffer
      - .actual_access:  write_only
        .address_space:  global
        .offset:         88
        .size:           8
        .value_kind:     global_buffer
      - .actual_access:  write_only
        .address_space:  global
        .offset:         96
        .size:           8
        .value_kind:     global_buffer
      - .offset:         104
        .size:           4
        .value_kind:     by_value
      - .offset:         108
        .size:           4
        .value_kind:     by_value
      - .offset:         112
        .size:           4
        .value_kind:     by_value
      - .offset:         116
        .size:           1
        .value_kind:     by_value
    .group_segment_fixed_size: 8448
    .kernarg_segment_align: 8
    .kernarg_segment_size: 120
    .language:       OpenCL C
    .language_version:
      - 2
      - 0
    .max_flat_workgroup_size: 256
    .name:           _ZN9rocsparseL39bsrgeam_wf_per_row_multipass_2_3_kernelILj256ELj2ELj32E21rocsparse_complex_numIfEEEv20rocsparse_direction_iiiNS_24const_host_device_scalarIT2_EEPKiS8_PKS5_S6_S8_S8_SA_S8_PiPS5_21rocsparse_index_base_SD_SD_b
    .private_segment_fixed_size: 0
    .sgpr_count:     30
    .sgpr_spill_count: 0
    .symbol:         _ZN9rocsparseL39bsrgeam_wf_per_row_multipass_2_3_kernelILj256ELj2ELj32E21rocsparse_complex_numIfEEEv20rocsparse_direction_iiiNS_24const_host_device_scalarIT2_EEPKiS8_PKS5_S6_S8_S8_SA_S8_PiPS5_21rocsparse_index_base_SD_SD_b.kd
    .uniform_work_group_size: 1
    .uses_dynamic_stack: false
    .vgpr_count:     45
    .vgpr_spill_count: 0
    .wavefront_size: 32
    .workgroup_processor_mode: 1
  - .args:
      - .offset:         0
        .size:           4
        .value_kind:     by_value
      - .offset:         4
        .size:           4
        .value_kind:     by_value
      - .offset:         8
        .size:           4
        .value_kind:     by_value
      - .offset:         12
        .size:           4
        .value_kind:     by_value
      - .offset:         16
        .size:           8
        .value_kind:     by_value
      - .actual_access:  read_only
        .address_space:  global
        .offset:         24
        .size:           8
        .value_kind:     global_buffer
      - .actual_access:  read_only
        .address_space:  global
        .offset:         32
        .size:           8
        .value_kind:     global_buffer
      - .actual_access:  read_only
        .address_space:  global
        .offset:         40
        .size:           8
        .value_kind:     global_buffer
      - .offset:         48
        .size:           8
        .value_kind:     by_value
      - .actual_access:  read_only
        .address_space:  global
        .offset:         56
        .size:           8
        .value_kind:     global_buffer
      - .actual_access:  read_only
        .address_space:  global
        .offset:         64
        .size:           8
        .value_kind:     global_buffer
      - .actual_access:  read_only
        .address_space:  global
        .offset:         72
        .size:           8
        .value_kind:     global_buffer
      - .actual_access:  read_only
        .address_space:  global
        .offset:         80
        .size:           8
        .value_kind:     global_buffer
      - .actual_access:  write_only
        .address_space:  global
        .offset:         88
        .size:           8
        .value_kind:     global_buffer
      - .actual_access:  write_only
        .address_space:  global
        .offset:         96
        .size:           8
        .value_kind:     global_buffer
      - .offset:         104
        .size:           4
        .value_kind:     by_value
      - .offset:         108
        .size:           4
        .value_kind:     by_value
      - .offset:         112
        .size:           4
        .value_kind:     by_value
      - .offset:         116
        .size:           1
        .value_kind:     by_value
    .group_segment_fixed_size: 8448
    .kernarg_segment_align: 8
    .kernarg_segment_size: 120
    .language:       OpenCL C
    .language_version:
      - 2
      - 0
    .max_flat_workgroup_size: 256
    .name:           _ZN9rocsparseL39bsrgeam_wf_per_row_multipass_2_3_kernelILj256ELj2ELj64E21rocsparse_complex_numIfEEEv20rocsparse_direction_iiiNS_24const_host_device_scalarIT2_EEPKiS8_PKS5_S6_S8_S8_SA_S8_PiPS5_21rocsparse_index_base_SD_SD_b
    .private_segment_fixed_size: 0
    .sgpr_count:     30
    .sgpr_spill_count: 0
    .symbol:         _ZN9rocsparseL39bsrgeam_wf_per_row_multipass_2_3_kernelILj256ELj2ELj64E21rocsparse_complex_numIfEEEv20rocsparse_direction_iiiNS_24const_host_device_scalarIT2_EEPKiS8_PKS5_S6_S8_S8_SA_S8_PiPS5_21rocsparse_index_base_SD_SD_b.kd
    .uniform_work_group_size: 1
    .uses_dynamic_stack: false
    .vgpr_count:     46
    .vgpr_spill_count: 0
    .wavefront_size: 32
    .workgroup_processor_mode: 1
  - .args:
      - .offset:         0
        .size:           4
        .value_kind:     by_value
      - .offset:         4
        .size:           4
        .value_kind:     by_value
      - .offset:         8
        .size:           4
        .value_kind:     by_value
      - .offset:         12
        .size:           4
        .value_kind:     by_value
      - .offset:         16
        .size:           8
        .value_kind:     by_value
      - .actual_access:  read_only
        .address_space:  global
        .offset:         24
        .size:           8
        .value_kind:     global_buffer
      - .actual_access:  read_only
        .address_space:  global
        .offset:         32
        .size:           8
        .value_kind:     global_buffer
      - .actual_access:  read_only
        .address_space:  global
        .offset:         40
        .size:           8
        .value_kind:     global_buffer
      - .offset:         48
        .size:           8
        .value_kind:     by_value
      - .actual_access:  read_only
        .address_space:  global
        .offset:         56
        .size:           8
        .value_kind:     global_buffer
      - .actual_access:  read_only
        .address_space:  global
        .offset:         64
        .size:           8
        .value_kind:     global_buffer
      - .actual_access:  read_only
        .address_space:  global
        .offset:         72
        .size:           8
        .value_kind:     global_buffer
      - .actual_access:  read_only
        .address_space:  global
        .offset:         80
        .size:           8
        .value_kind:     global_buffer
      - .actual_access:  write_only
        .address_space:  global
        .offset:         88
        .size:           8
        .value_kind:     global_buffer
      - .actual_access:  write_only
        .address_space:  global
        .offset:         96
        .size:           8
        .value_kind:     global_buffer
      - .offset:         104
        .size:           4
        .value_kind:     by_value
      - .offset:         108
        .size:           4
        .value_kind:     by_value
      - .offset:         112
        .size:           4
        .value_kind:     by_value
      - .offset:         116
        .size:           1
        .value_kind:     by_value
    .group_segment_fixed_size: 18688
    .kernarg_segment_align: 8
    .kernarg_segment_size: 120
    .language:       OpenCL C
    .language_version:
      - 2
      - 0
    .max_flat_workgroup_size: 256
    .name:           _ZN9rocsparseL39bsrgeam_wf_per_row_multipass_2_3_kernelILj256ELj3ELj32E21rocsparse_complex_numIfEEEv20rocsparse_direction_iiiNS_24const_host_device_scalarIT2_EEPKiS8_PKS5_S6_S8_S8_SA_S8_PiPS5_21rocsparse_index_base_SD_SD_b
    .private_segment_fixed_size: 0
    .sgpr_count:     34
    .sgpr_spill_count: 0
    .symbol:         _ZN9rocsparseL39bsrgeam_wf_per_row_multipass_2_3_kernelILj256ELj3ELj32E21rocsparse_complex_numIfEEEv20rocsparse_direction_iiiNS_24const_host_device_scalarIT2_EEPKiS8_PKS5_S6_S8_S8_SA_S8_PiPS5_21rocsparse_index_base_SD_SD_b.kd
    .uniform_work_group_size: 1
    .uses_dynamic_stack: false
    .vgpr_count:     76
    .vgpr_spill_count: 0
    .wavefront_size: 32
    .workgroup_processor_mode: 1
  - .args:
      - .offset:         0
        .size:           4
        .value_kind:     by_value
      - .offset:         4
        .size:           4
        .value_kind:     by_value
      - .offset:         8
        .size:           4
        .value_kind:     by_value
      - .offset:         12
        .size:           4
        .value_kind:     by_value
      - .offset:         16
        .size:           8
        .value_kind:     by_value
      - .actual_access:  read_only
        .address_space:  global
        .offset:         24
        .size:           8
        .value_kind:     global_buffer
      - .actual_access:  read_only
        .address_space:  global
        .offset:         32
        .size:           8
        .value_kind:     global_buffer
      - .actual_access:  read_only
        .address_space:  global
        .offset:         40
        .size:           8
        .value_kind:     global_buffer
      - .offset:         48
        .size:           8
        .value_kind:     by_value
      - .actual_access:  read_only
        .address_space:  global
        .offset:         56
        .size:           8
        .value_kind:     global_buffer
      - .actual_access:  read_only
        .address_space:  global
        .offset:         64
        .size:           8
        .value_kind:     global_buffer
      - .actual_access:  read_only
        .address_space:  global
        .offset:         72
        .size:           8
        .value_kind:     global_buffer
      - .actual_access:  read_only
        .address_space:  global
        .offset:         80
        .size:           8
        .value_kind:     global_buffer
      - .actual_access:  write_only
        .address_space:  global
        .offset:         88
        .size:           8
        .value_kind:     global_buffer
      - .actual_access:  write_only
        .address_space:  global
        .offset:         96
        .size:           8
        .value_kind:     global_buffer
      - .offset:         104
        .size:           4
        .value_kind:     by_value
      - .offset:         108
        .size:           4
        .value_kind:     by_value
      - .offset:         112
        .size:           4
        .value_kind:     by_value
      - .offset:         116
        .size:           1
        .value_kind:     by_value
    .group_segment_fixed_size: 18688
    .kernarg_segment_align: 8
    .kernarg_segment_size: 120
    .language:       OpenCL C
    .language_version:
      - 2
      - 0
    .max_flat_workgroup_size: 256
    .name:           _ZN9rocsparseL39bsrgeam_wf_per_row_multipass_2_3_kernelILj256ELj3ELj64E21rocsparse_complex_numIfEEEv20rocsparse_direction_iiiNS_24const_host_device_scalarIT2_EEPKiS8_PKS5_S6_S8_S8_SA_S8_PiPS5_21rocsparse_index_base_SD_SD_b
    .private_segment_fixed_size: 0
    .sgpr_count:     34
    .sgpr_spill_count: 0
    .symbol:         _ZN9rocsparseL39bsrgeam_wf_per_row_multipass_2_3_kernelILj256ELj3ELj64E21rocsparse_complex_numIfEEEv20rocsparse_direction_iiiNS_24const_host_device_scalarIT2_EEPKiS8_PKS5_S6_S8_S8_SA_S8_PiPS5_21rocsparse_index_base_SD_SD_b.kd
    .uniform_work_group_size: 1
    .uses_dynamic_stack: false
    .vgpr_count:     78
    .vgpr_spill_count: 0
    .wavefront_size: 32
    .workgroup_processor_mode: 1
  - .args:
      - .offset:         0
        .size:           4
        .value_kind:     by_value
      - .offset:         4
        .size:           4
        .value_kind:     by_value
      - .offset:         8
        .size:           4
        .value_kind:     by_value
      - .offset:         12
        .size:           4
        .value_kind:     by_value
      - .offset:         16
        .size:           8
        .value_kind:     by_value
      - .actual_access:  read_only
        .address_space:  global
        .offset:         24
        .size:           8
        .value_kind:     global_buffer
      - .actual_access:  read_only
        .address_space:  global
        .offset:         32
        .size:           8
        .value_kind:     global_buffer
      - .actual_access:  read_only
        .address_space:  global
        .offset:         40
        .size:           8
        .value_kind:     global_buffer
      - .offset:         48
        .size:           8
        .value_kind:     by_value
      - .actual_access:  read_only
        .address_space:  global
        .offset:         56
        .size:           8
        .value_kind:     global_buffer
      - .actual_access:  read_only
        .address_space:  global
        .offset:         64
        .size:           8
        .value_kind:     global_buffer
      - .actual_access:  read_only
        .address_space:  global
        .offset:         72
        .size:           8
        .value_kind:     global_buffer
      - .actual_access:  read_only
        .address_space:  global
        .offset:         80
        .size:           8
        .value_kind:     global_buffer
      - .actual_access:  write_only
        .address_space:  global
        .offset:         88
        .size:           8
        .value_kind:     global_buffer
      - .actual_access:  write_only
        .address_space:  global
        .offset:         96
        .size:           8
        .value_kind:     global_buffer
      - .offset:         104
        .size:           4
        .value_kind:     by_value
      - .offset:         108
        .size:           4
        .value_kind:     by_value
      - .offset:         112
        .size:           4
        .value_kind:     by_value
      - .offset:         116
        .size:           1
        .value_kind:     by_value
    .group_segment_fixed_size: 544
    .kernarg_segment_align: 8
    .kernarg_segment_size: 120
    .language:       OpenCL C
    .language_version:
      - 2
      - 0
    .max_flat_workgroup_size: 64
    .name:           _ZN9rocsparseL35bsrgeam_wf_per_row_multipass_kernelILj64ELj4E21rocsparse_complex_numIfEEEv20rocsparse_direction_iiiNS_24const_host_device_scalarIT1_EEPKiS8_PKS5_S6_S8_S8_SA_S8_PiPS5_21rocsparse_index_base_SD_SD_b
    .private_segment_fixed_size: 0
    .sgpr_count:     33
    .sgpr_spill_count: 0
    .symbol:         _ZN9rocsparseL35bsrgeam_wf_per_row_multipass_kernelILj64ELj4E21rocsparse_complex_numIfEEEv20rocsparse_direction_iiiNS_24const_host_device_scalarIT1_EEPKiS8_PKS5_S6_S8_S8_SA_S8_PiPS5_21rocsparse_index_base_SD_SD_b.kd
    .uniform_work_group_size: 1
    .uses_dynamic_stack: false
    .vgpr_count:     28
    .vgpr_spill_count: 0
    .wavefront_size: 32
    .workgroup_processor_mode: 1
  - .args:
      - .offset:         0
        .size:           4
        .value_kind:     by_value
      - .offset:         4
        .size:           4
        .value_kind:     by_value
      - .offset:         8
        .size:           4
        .value_kind:     by_value
      - .offset:         12
        .size:           4
        .value_kind:     by_value
      - .offset:         16
        .size:           8
        .value_kind:     by_value
      - .actual_access:  read_only
        .address_space:  global
        .offset:         24
        .size:           8
        .value_kind:     global_buffer
      - .actual_access:  read_only
        .address_space:  global
        .offset:         32
        .size:           8
        .value_kind:     global_buffer
      - .actual_access:  read_only
        .address_space:  global
        .offset:         40
        .size:           8
        .value_kind:     global_buffer
      - .offset:         48
        .size:           8
        .value_kind:     by_value
      - .actual_access:  read_only
        .address_space:  global
        .offset:         56
        .size:           8
        .value_kind:     global_buffer
      - .actual_access:  read_only
        .address_space:  global
        .offset:         64
        .size:           8
        .value_kind:     global_buffer
      - .actual_access:  read_only
        .address_space:  global
        .offset:         72
        .size:           8
        .value_kind:     global_buffer
      - .actual_access:  read_only
        .address_space:  global
        .offset:         80
        .size:           8
        .value_kind:     global_buffer
      - .actual_access:  write_only
        .address_space:  global
        .offset:         88
        .size:           8
        .value_kind:     global_buffer
      - .actual_access:  write_only
        .address_space:  global
        .offset:         96
        .size:           8
        .value_kind:     global_buffer
      - .offset:         104
        .size:           4
        .value_kind:     by_value
      - .offset:         108
        .size:           4
        .value_kind:     by_value
      - .offset:         112
        .size:           4
        .value_kind:     by_value
      - .offset:         116
        .size:           1
        .value_kind:     by_value
    .group_segment_fixed_size: 520
    .kernarg_segment_align: 8
    .kernarg_segment_size: 120
    .language:       OpenCL C
    .language_version:
      - 2
      - 0
    .max_flat_workgroup_size: 64
    .name:           _ZN9rocsparseL35bsrgeam_wf_per_row_multipass_kernelILj64ELj8E21rocsparse_complex_numIfEEEv20rocsparse_direction_iiiNS_24const_host_device_scalarIT1_EEPKiS8_PKS5_S6_S8_S8_SA_S8_PiPS5_21rocsparse_index_base_SD_SD_b
    .private_segment_fixed_size: 0
    .sgpr_count:     31
    .sgpr_spill_count: 0
    .symbol:         _ZN9rocsparseL35bsrgeam_wf_per_row_multipass_kernelILj64ELj8E21rocsparse_complex_numIfEEEv20rocsparse_direction_iiiNS_24const_host_device_scalarIT1_EEPKiS8_PKS5_S6_S8_S8_SA_S8_PiPS5_21rocsparse_index_base_SD_SD_b.kd
    .uniform_work_group_size: 1
    .uses_dynamic_stack: false
    .vgpr_count:     27
    .vgpr_spill_count: 0
    .wavefront_size: 32
    .workgroup_processor_mode: 1
  - .args:
      - .offset:         0
        .size:           4
        .value_kind:     by_value
      - .offset:         4
        .size:           4
        .value_kind:     by_value
      - .offset:         8
        .size:           4
        .value_kind:     by_value
      - .offset:         12
        .size:           4
        .value_kind:     by_value
      - .offset:         16
        .size:           8
        .value_kind:     by_value
      - .actual_access:  read_only
        .address_space:  global
        .offset:         24
        .size:           8
        .value_kind:     global_buffer
      - .actual_access:  read_only
        .address_space:  global
        .offset:         32
        .size:           8
        .value_kind:     global_buffer
      - .actual_access:  read_only
        .address_space:  global
        .offset:         40
        .size:           8
        .value_kind:     global_buffer
      - .offset:         48
        .size:           8
        .value_kind:     by_value
      - .actual_access:  read_only
        .address_space:  global
        .offset:         56
        .size:           8
        .value_kind:     global_buffer
      - .actual_access:  read_only
        .address_space:  global
        .offset:         64
        .size:           8
        .value_kind:     global_buffer
      - .actual_access:  read_only
        .address_space:  global
        .offset:         72
        .size:           8
        .value_kind:     global_buffer
      - .actual_access:  read_only
        .address_space:  global
        .offset:         80
        .size:           8
        .value_kind:     global_buffer
      - .actual_access:  write_only
        .address_space:  global
        .offset:         88
        .size:           8
        .value_kind:     global_buffer
      - .actual_access:  write_only
        .address_space:  global
        .offset:         96
        .size:           8
        .value_kind:     global_buffer
      - .offset:         104
        .size:           4
        .value_kind:     by_value
      - .offset:         108
        .size:           4
        .value_kind:     by_value
      - .offset:         112
        .size:           4
        .value_kind:     by_value
      - .offset:         116
        .size:           1
        .value_kind:     by_value
    .group_segment_fixed_size: 2052
    .kernarg_segment_align: 8
    .kernarg_segment_size: 120
    .language:       OpenCL C
    .language_version:
      - 2
      - 0
    .max_flat_workgroup_size: 256
    .name:           _ZN9rocsparseL39bsrgeam_block_per_row_multipass_kernel2ILj256ELj16E21rocsparse_complex_numIfEEEv20rocsparse_direction_iiiNS_24const_host_device_scalarIT1_EEPKiS8_PKS5_S6_S8_S8_SA_S8_PiPS5_21rocsparse_index_base_SD_SD_b
    .private_segment_fixed_size: 0
    .sgpr_count:     41
    .sgpr_spill_count: 0
    .symbol:         _ZN9rocsparseL39bsrgeam_block_per_row_multipass_kernel2ILj256ELj16E21rocsparse_complex_numIfEEEv20rocsparse_direction_iiiNS_24const_host_device_scalarIT1_EEPKiS8_PKS5_S6_S8_S8_SA_S8_PiPS5_21rocsparse_index_base_SD_SD_b.kd
    .uniform_work_group_size: 1
    .uses_dynamic_stack: false
    .vgpr_count:     16
    .vgpr_spill_count: 0
    .wavefront_size: 32
    .workgroup_processor_mode: 1
  - .args:
      - .offset:         0
        .size:           4
        .value_kind:     by_value
      - .offset:         4
        .size:           4
        .value_kind:     by_value
      - .offset:         8
        .size:           4
        .value_kind:     by_value
      - .offset:         12
        .size:           4
        .value_kind:     by_value
      - .offset:         16
        .size:           8
        .value_kind:     by_value
      - .actual_access:  read_only
        .address_space:  global
        .offset:         24
        .size:           8
        .value_kind:     global_buffer
      - .actual_access:  read_only
        .address_space:  global
        .offset:         32
        .size:           8
        .value_kind:     global_buffer
      - .actual_access:  read_only
        .address_space:  global
        .offset:         40
        .size:           8
        .value_kind:     global_buffer
      - .offset:         48
        .size:           8
        .value_kind:     by_value
      - .actual_access:  read_only
        .address_space:  global
        .offset:         56
        .size:           8
        .value_kind:     global_buffer
      - .actual_access:  read_only
        .address_space:  global
        .offset:         64
        .size:           8
        .value_kind:     global_buffer
      - .actual_access:  read_only
        .address_space:  global
        .offset:         72
        .size:           8
        .value_kind:     global_buffer
      - .actual_access:  read_only
        .address_space:  global
        .offset:         80
        .size:           8
        .value_kind:     global_buffer
      - .actual_access:  write_only
        .address_space:  global
        .offset:         88
        .size:           8
        .value_kind:     global_buffer
      - .actual_access:  write_only
        .address_space:  global
        .offset:         96
        .size:           8
        .value_kind:     global_buffer
      - .offset:         104
        .size:           4
        .value_kind:     by_value
      - .offset:         108
        .size:           4
        .value_kind:     by_value
      - .offset:         112
        .size:           4
        .value_kind:     by_value
      - .offset:         116
        .size:           1
        .value_kind:     by_value
    .group_segment_fixed_size: 8196
    .kernarg_segment_align: 8
    .kernarg_segment_size: 120
    .language:       OpenCL C
    .language_version:
      - 2
      - 0
    .max_flat_workgroup_size: 256
    .name:           _ZN9rocsparseL39bsrgeam_block_per_row_multipass_kernel2ILj256ELj32E21rocsparse_complex_numIfEEEv20rocsparse_direction_iiiNS_24const_host_device_scalarIT1_EEPKiS8_PKS5_S6_S8_S8_SA_S8_PiPS5_21rocsparse_index_base_SD_SD_b
    .private_segment_fixed_size: 0
    .sgpr_count:     44
    .sgpr_spill_count: 0
    .symbol:         _ZN9rocsparseL39bsrgeam_block_per_row_multipass_kernel2ILj256ELj32E21rocsparse_complex_numIfEEEv20rocsparse_direction_iiiNS_24const_host_device_scalarIT1_EEPKiS8_PKS5_S6_S8_S8_SA_S8_PiPS5_21rocsparse_index_base_SD_SD_b.kd
    .uniform_work_group_size: 1
    .uses_dynamic_stack: false
    .vgpr_count:     25
    .vgpr_spill_count: 0
    .wavefront_size: 32
    .workgroup_processor_mode: 1
  - .args:
      - .offset:         0
        .size:           4
        .value_kind:     by_value
      - .offset:         4
        .size:           4
        .value_kind:     by_value
      - .offset:         8
        .size:           4
        .value_kind:     by_value
      - .offset:         12
        .size:           4
        .value_kind:     by_value
      - .offset:         16
        .size:           16
        .value_kind:     by_value
      - .actual_access:  read_only
        .address_space:  global
        .offset:         32
        .size:           8
        .value_kind:     global_buffer
      - .actual_access:  read_only
        .address_space:  global
        .offset:         40
        .size:           8
        .value_kind:     global_buffer
      - .actual_access:  read_only
        .address_space:  global
        .offset:         48
        .size:           8
        .value_kind:     global_buffer
      - .offset:         56
        .size:           16
        .value_kind:     by_value
      - .actual_access:  read_only
        .address_space:  global
        .offset:         72
        .size:           8
        .value_kind:     global_buffer
      - .actual_access:  read_only
        .address_space:  global
        .offset:         80
        .size:           8
        .value_kind:     global_buffer
      - .actual_access:  read_only
        .address_space:  global
        .offset:         88
        .size:           8
        .value_kind:     global_buffer
      - .actual_access:  read_only
        .address_space:  global
        .offset:         96
        .size:           8
        .value_kind:     global_buffer
      - .actual_access:  write_only
        .address_space:  global
        .offset:         104
        .size:           8
        .value_kind:     global_buffer
      - .actual_access:  write_only
        .address_space:  global
        .offset:         112
        .size:           8
        .value_kind:     global_buffer
      - .offset:         120
        .size:           4
        .value_kind:     by_value
      - .offset:         124
        .size:           4
        .value_kind:     by_value
      - .offset:         128
        .size:           4
        .value_kind:     by_value
      - .offset:         132
        .size:           1
        .value_kind:     by_value
    .group_segment_fixed_size: 16640
    .kernarg_segment_align: 8
    .kernarg_segment_size: 136
    .language:       OpenCL C
    .language_version:
      - 2
      - 0
    .max_flat_workgroup_size: 256
    .name:           _ZN9rocsparseL39bsrgeam_wf_per_row_multipass_2_3_kernelILj256ELj2ELj32E21rocsparse_complex_numIdEEEv20rocsparse_direction_iiiNS_24const_host_device_scalarIT2_EEPKiS8_PKS5_S6_S8_S8_SA_S8_PiPS5_21rocsparse_index_base_SD_SD_b
    .private_segment_fixed_size: 16
    .sgpr_count:     29
    .sgpr_spill_count: 0
    .symbol:         _ZN9rocsparseL39bsrgeam_wf_per_row_multipass_2_3_kernelILj256ELj2ELj32E21rocsparse_complex_numIdEEEv20rocsparse_direction_iiiNS_24const_host_device_scalarIT2_EEPKiS8_PKS5_S6_S8_S8_SA_S8_PiPS5_21rocsparse_index_base_SD_SD_b.kd
    .uniform_work_group_size: 1
    .uses_dynamic_stack: false
    .vgpr_count:     68
    .vgpr_spill_count: 0
    .wavefront_size: 32
    .workgroup_processor_mode: 1
  - .args:
      - .offset:         0
        .size:           4
        .value_kind:     by_value
      - .offset:         4
        .size:           4
        .value_kind:     by_value
      - .offset:         8
        .size:           4
        .value_kind:     by_value
      - .offset:         12
        .size:           4
        .value_kind:     by_value
      - .offset:         16
        .size:           16
        .value_kind:     by_value
      - .actual_access:  read_only
        .address_space:  global
        .offset:         32
        .size:           8
        .value_kind:     global_buffer
      - .actual_access:  read_only
        .address_space:  global
        .offset:         40
        .size:           8
        .value_kind:     global_buffer
      - .actual_access:  read_only
        .address_space:  global
        .offset:         48
        .size:           8
        .value_kind:     global_buffer
      - .offset:         56
        .size:           16
        .value_kind:     by_value
      - .actual_access:  read_only
        .address_space:  global
        .offset:         72
        .size:           8
        .value_kind:     global_buffer
      - .actual_access:  read_only
        .address_space:  global
        .offset:         80
        .size:           8
        .value_kind:     global_buffer
      - .actual_access:  read_only
        .address_space:  global
        .offset:         88
        .size:           8
        .value_kind:     global_buffer
      - .actual_access:  read_only
        .address_space:  global
        .offset:         96
        .size:           8
        .value_kind:     global_buffer
      - .actual_access:  write_only
        .address_space:  global
        .offset:         104
        .size:           8
        .value_kind:     global_buffer
      - .actual_access:  write_only
        .address_space:  global
        .offset:         112
        .size:           8
        .value_kind:     global_buffer
      - .offset:         120
        .size:           4
        .value_kind:     by_value
      - .offset:         124
        .size:           4
        .value_kind:     by_value
      - .offset:         128
        .size:           4
        .value_kind:     by_value
      - .offset:         132
        .size:           1
        .value_kind:     by_value
    .group_segment_fixed_size: 16640
    .kernarg_segment_align: 8
    .kernarg_segment_size: 136
    .language:       OpenCL C
    .language_version:
      - 2
      - 0
    .max_flat_workgroup_size: 256
    .name:           _ZN9rocsparseL39bsrgeam_wf_per_row_multipass_2_3_kernelILj256ELj2ELj64E21rocsparse_complex_numIdEEEv20rocsparse_direction_iiiNS_24const_host_device_scalarIT2_EEPKiS8_PKS5_S6_S8_S8_SA_S8_PiPS5_21rocsparse_index_base_SD_SD_b
    .private_segment_fixed_size: 16
    .sgpr_count:     29
    .sgpr_spill_count: 0
    .symbol:         _ZN9rocsparseL39bsrgeam_wf_per_row_multipass_2_3_kernelILj256ELj2ELj64E21rocsparse_complex_numIdEEEv20rocsparse_direction_iiiNS_24const_host_device_scalarIT2_EEPKiS8_PKS5_S6_S8_S8_SA_S8_PiPS5_21rocsparse_index_base_SD_SD_b.kd
    .uniform_work_group_size: 1
    .uses_dynamic_stack: false
    .vgpr_count:     69
    .vgpr_spill_count: 0
    .wavefront_size: 32
    .workgroup_processor_mode: 1
  - .args:
      - .offset:         0
        .size:           4
        .value_kind:     by_value
      - .offset:         4
        .size:           4
        .value_kind:     by_value
      - .offset:         8
        .size:           4
        .value_kind:     by_value
      - .offset:         12
        .size:           4
        .value_kind:     by_value
      - .offset:         16
        .size:           16
        .value_kind:     by_value
      - .actual_access:  read_only
        .address_space:  global
        .offset:         32
        .size:           8
        .value_kind:     global_buffer
      - .actual_access:  read_only
        .address_space:  global
        .offset:         40
        .size:           8
        .value_kind:     global_buffer
      - .actual_access:  read_only
        .address_space:  global
        .offset:         48
        .size:           8
        .value_kind:     global_buffer
      - .offset:         56
        .size:           16
        .value_kind:     by_value
      - .actual_access:  read_only
        .address_space:  global
        .offset:         72
        .size:           8
        .value_kind:     global_buffer
      - .actual_access:  read_only
        .address_space:  global
        .offset:         80
        .size:           8
        .value_kind:     global_buffer
      - .actual_access:  read_only
        .address_space:  global
        .offset:         88
        .size:           8
        .value_kind:     global_buffer
      - .actual_access:  read_only
        .address_space:  global
        .offset:         96
        .size:           8
        .value_kind:     global_buffer
      - .actual_access:  write_only
        .address_space:  global
        .offset:         104
        .size:           8
        .value_kind:     global_buffer
      - .actual_access:  write_only
        .address_space:  global
        .offset:         112
        .size:           8
        .value_kind:     global_buffer
      - .offset:         120
        .size:           4
        .value_kind:     by_value
      - .offset:         124
        .size:           4
        .value_kind:     by_value
      - .offset:         128
        .size:           4
        .value_kind:     by_value
      - .offset:         132
        .size:           1
        .value_kind:     by_value
    .group_segment_fixed_size: 37120
    .kernarg_segment_align: 8
    .kernarg_segment_size: 136
    .language:       OpenCL C
    .language_version:
      - 2
      - 0
    .max_flat_workgroup_size: 256
    .name:           _ZN9rocsparseL39bsrgeam_wf_per_row_multipass_2_3_kernelILj256ELj3ELj32E21rocsparse_complex_numIdEEEv20rocsparse_direction_iiiNS_24const_host_device_scalarIT2_EEPKiS8_PKS5_S6_S8_S8_SA_S8_PiPS5_21rocsparse_index_base_SD_SD_b
    .private_segment_fixed_size: 16
    .sgpr_count:     29
    .sgpr_spill_count: 0
    .symbol:         _ZN9rocsparseL39bsrgeam_wf_per_row_multipass_2_3_kernelILj256ELj3ELj32E21rocsparse_complex_numIdEEEv20rocsparse_direction_iiiNS_24const_host_device_scalarIT2_EEPKiS8_PKS5_S6_S8_S8_SA_S8_PiPS5_21rocsparse_index_base_SD_SD_b.kd
    .uniform_work_group_size: 1
    .uses_dynamic_stack: false
    .vgpr_count:     124
    .vgpr_spill_count: 0
    .wavefront_size: 32
    .workgroup_processor_mode: 1
  - .args:
      - .offset:         0
        .size:           4
        .value_kind:     by_value
      - .offset:         4
        .size:           4
        .value_kind:     by_value
      - .offset:         8
        .size:           4
        .value_kind:     by_value
      - .offset:         12
        .size:           4
        .value_kind:     by_value
      - .offset:         16
        .size:           16
        .value_kind:     by_value
      - .actual_access:  read_only
        .address_space:  global
        .offset:         32
        .size:           8
        .value_kind:     global_buffer
      - .actual_access:  read_only
        .address_space:  global
        .offset:         40
        .size:           8
        .value_kind:     global_buffer
      - .actual_access:  read_only
        .address_space:  global
        .offset:         48
        .size:           8
        .value_kind:     global_buffer
      - .offset:         56
        .size:           16
        .value_kind:     by_value
      - .actual_access:  read_only
        .address_space:  global
        .offset:         72
        .size:           8
        .value_kind:     global_buffer
      - .actual_access:  read_only
        .address_space:  global
        .offset:         80
        .size:           8
        .value_kind:     global_buffer
      - .actual_access:  read_only
        .address_space:  global
        .offset:         88
        .size:           8
        .value_kind:     global_buffer
      - .actual_access:  read_only
        .address_space:  global
        .offset:         96
        .size:           8
        .value_kind:     global_buffer
      - .actual_access:  write_only
        .address_space:  global
        .offset:         104
        .size:           8
        .value_kind:     global_buffer
      - .actual_access:  write_only
        .address_space:  global
        .offset:         112
        .size:           8
        .value_kind:     global_buffer
      - .offset:         120
        .size:           4
        .value_kind:     by_value
      - .offset:         124
        .size:           4
        .value_kind:     by_value
      - .offset:         128
        .size:           4
        .value_kind:     by_value
      - .offset:         132
        .size:           1
        .value_kind:     by_value
    .group_segment_fixed_size: 37120
    .kernarg_segment_align: 8
    .kernarg_segment_size: 136
    .language:       OpenCL C
    .language_version:
      - 2
      - 0
    .max_flat_workgroup_size: 256
    .name:           _ZN9rocsparseL39bsrgeam_wf_per_row_multipass_2_3_kernelILj256ELj3ELj64E21rocsparse_complex_numIdEEEv20rocsparse_direction_iiiNS_24const_host_device_scalarIT2_EEPKiS8_PKS5_S6_S8_S8_SA_S8_PiPS5_21rocsparse_index_base_SD_SD_b
    .private_segment_fixed_size: 16
    .sgpr_count:     29
    .sgpr_spill_count: 0
    .symbol:         _ZN9rocsparseL39bsrgeam_wf_per_row_multipass_2_3_kernelILj256ELj3ELj64E21rocsparse_complex_numIdEEEv20rocsparse_direction_iiiNS_24const_host_device_scalarIT2_EEPKiS8_PKS5_S6_S8_S8_SA_S8_PiPS5_21rocsparse_index_base_SD_SD_b.kd
    .uniform_work_group_size: 1
    .uses_dynamic_stack: false
    .vgpr_count:     126
    .vgpr_spill_count: 0
    .wavefront_size: 32
    .workgroup_processor_mode: 1
  - .args:
      - .offset:         0
        .size:           4
        .value_kind:     by_value
      - .offset:         4
        .size:           4
        .value_kind:     by_value
      - .offset:         8
        .size:           4
        .value_kind:     by_value
      - .offset:         12
        .size:           4
        .value_kind:     by_value
      - .offset:         16
        .size:           16
        .value_kind:     by_value
      - .actual_access:  read_only
        .address_space:  global
        .offset:         32
        .size:           8
        .value_kind:     global_buffer
      - .actual_access:  read_only
        .address_space:  global
        .offset:         40
        .size:           8
        .value_kind:     global_buffer
      - .actual_access:  read_only
        .address_space:  global
        .offset:         48
        .size:           8
        .value_kind:     global_buffer
      - .offset:         56
        .size:           16
        .value_kind:     by_value
      - .actual_access:  read_only
        .address_space:  global
        .offset:         72
        .size:           8
        .value_kind:     global_buffer
      - .actual_access:  read_only
        .address_space:  global
        .offset:         80
        .size:           8
        .value_kind:     global_buffer
      - .actual_access:  read_only
        .address_space:  global
        .offset:         88
        .size:           8
        .value_kind:     global_buffer
      - .actual_access:  read_only
        .address_space:  global
        .offset:         96
        .size:           8
        .value_kind:     global_buffer
      - .actual_access:  write_only
        .address_space:  global
        .offset:         104
        .size:           8
        .value_kind:     global_buffer
      - .actual_access:  write_only
        .address_space:  global
        .offset:         112
        .size:           8
        .value_kind:     global_buffer
      - .offset:         120
        .size:           4
        .value_kind:     by_value
      - .offset:         124
        .size:           4
        .value_kind:     by_value
      - .offset:         128
        .size:           4
        .value_kind:     by_value
      - .offset:         132
        .size:           1
        .value_kind:     by_value
    .group_segment_fixed_size: 1056
    .kernarg_segment_align: 8
    .kernarg_segment_size: 136
    .language:       OpenCL C
    .language_version:
      - 2
      - 0
    .max_flat_workgroup_size: 64
    .name:           _ZN9rocsparseL35bsrgeam_wf_per_row_multipass_kernelILj64ELj4E21rocsparse_complex_numIdEEEv20rocsparse_direction_iiiNS_24const_host_device_scalarIT1_EEPKiS8_PKS5_S6_S8_S8_SA_S8_PiPS5_21rocsparse_index_base_SD_SD_b
    .private_segment_fixed_size: 16
    .sgpr_count:     30
    .sgpr_spill_count: 0
    .symbol:         _ZN9rocsparseL35bsrgeam_wf_per_row_multipass_kernelILj64ELj4E21rocsparse_complex_numIdEEEv20rocsparse_direction_iiiNS_24const_host_device_scalarIT1_EEPKiS8_PKS5_S6_S8_S8_SA_S8_PiPS5_21rocsparse_index_base_SD_SD_b.kd
    .uniform_work_group_size: 1
    .uses_dynamic_stack: false
    .vgpr_count:     45
    .vgpr_spill_count: 0
    .wavefront_size: 32
    .workgroup_processor_mode: 1
  - .args:
      - .offset:         0
        .size:           4
        .value_kind:     by_value
      - .offset:         4
        .size:           4
        .value_kind:     by_value
      - .offset:         8
        .size:           4
        .value_kind:     by_value
      - .offset:         12
        .size:           4
        .value_kind:     by_value
      - .offset:         16
        .size:           16
        .value_kind:     by_value
      - .actual_access:  read_only
        .address_space:  global
        .offset:         32
        .size:           8
        .value_kind:     global_buffer
      - .actual_access:  read_only
        .address_space:  global
        .offset:         40
        .size:           8
        .value_kind:     global_buffer
      - .actual_access:  read_only
        .address_space:  global
        .offset:         48
        .size:           8
        .value_kind:     global_buffer
      - .offset:         56
        .size:           16
        .value_kind:     by_value
      - .actual_access:  read_only
        .address_space:  global
        .offset:         72
        .size:           8
        .value_kind:     global_buffer
      - .actual_access:  read_only
        .address_space:  global
        .offset:         80
        .size:           8
        .value_kind:     global_buffer
      - .actual_access:  read_only
        .address_space:  global
        .offset:         88
        .size:           8
        .value_kind:     global_buffer
      - .actual_access:  read_only
        .address_space:  global
        .offset:         96
        .size:           8
        .value_kind:     global_buffer
      - .actual_access:  write_only
        .address_space:  global
        .offset:         104
        .size:           8
        .value_kind:     global_buffer
      - .actual_access:  write_only
        .address_space:  global
        .offset:         112
        .size:           8
        .value_kind:     global_buffer
      - .offset:         120
        .size:           4
        .value_kind:     by_value
      - .offset:         124
        .size:           4
        .value_kind:     by_value
      - .offset:         128
        .size:           4
        .value_kind:     by_value
      - .offset:         132
        .size:           1
        .value_kind:     by_value
    .group_segment_fixed_size: 1032
    .kernarg_segment_align: 8
    .kernarg_segment_size: 136
    .language:       OpenCL C
    .language_version:
      - 2
      - 0
    .max_flat_workgroup_size: 64
    .name:           _ZN9rocsparseL35bsrgeam_wf_per_row_multipass_kernelILj64ELj8E21rocsparse_complex_numIdEEEv20rocsparse_direction_iiiNS_24const_host_device_scalarIT1_EEPKiS8_PKS5_S6_S8_S8_SA_S8_PiPS5_21rocsparse_index_base_SD_SD_b
    .private_segment_fixed_size: 16
    .sgpr_count:     28
    .sgpr_spill_count: 0
    .symbol:         _ZN9rocsparseL35bsrgeam_wf_per_row_multipass_kernelILj64ELj8E21rocsparse_complex_numIdEEEv20rocsparse_direction_iiiNS_24const_host_device_scalarIT1_EEPKiS8_PKS5_S6_S8_S8_SA_S8_PiPS5_21rocsparse_index_base_SD_SD_b.kd
    .uniform_work_group_size: 1
    .uses_dynamic_stack: false
    .vgpr_count:     44
    .vgpr_spill_count: 0
    .wavefront_size: 32
    .workgroup_processor_mode: 1
  - .args:
      - .offset:         0
        .size:           4
        .value_kind:     by_value
      - .offset:         4
        .size:           4
        .value_kind:     by_value
      - .offset:         8
        .size:           4
        .value_kind:     by_value
      - .offset:         12
        .size:           4
        .value_kind:     by_value
      - .offset:         16
        .size:           16
        .value_kind:     by_value
      - .actual_access:  read_only
        .address_space:  global
        .offset:         32
        .size:           8
        .value_kind:     global_buffer
      - .actual_access:  read_only
        .address_space:  global
        .offset:         40
        .size:           8
        .value_kind:     global_buffer
      - .actual_access:  read_only
        .address_space:  global
        .offset:         48
        .size:           8
        .value_kind:     global_buffer
      - .offset:         56
        .size:           16
        .value_kind:     by_value
      - .actual_access:  read_only
        .address_space:  global
        .offset:         72
        .size:           8
        .value_kind:     global_buffer
      - .actual_access:  read_only
        .address_space:  global
        .offset:         80
        .size:           8
        .value_kind:     global_buffer
      - .actual_access:  read_only
        .address_space:  global
        .offset:         88
        .size:           8
        .value_kind:     global_buffer
      - .actual_access:  read_only
        .address_space:  global
        .offset:         96
        .size:           8
        .value_kind:     global_buffer
      - .actual_access:  write_only
        .address_space:  global
        .offset:         104
        .size:           8
        .value_kind:     global_buffer
      - .actual_access:  write_only
        .address_space:  global
        .offset:         112
        .size:           8
        .value_kind:     global_buffer
      - .offset:         120
        .size:           4
        .value_kind:     by_value
      - .offset:         124
        .size:           4
        .value_kind:     by_value
      - .offset:         128
        .size:           4
        .value_kind:     by_value
      - .offset:         132
        .size:           1
        .value_kind:     by_value
    .group_segment_fixed_size: 4104
    .kernarg_segment_align: 8
    .kernarg_segment_size: 136
    .language:       OpenCL C
    .language_version:
      - 2
      - 0
    .max_flat_workgroup_size: 256
    .name:           _ZN9rocsparseL39bsrgeam_block_per_row_multipass_kernel2ILj256ELj16E21rocsparse_complex_numIdEEEv20rocsparse_direction_iiiNS_24const_host_device_scalarIT1_EEPKiS8_PKS5_S6_S8_S8_SA_S8_PiPS5_21rocsparse_index_base_SD_SD_b
    .private_segment_fixed_size: 16
    .sgpr_count:     37
    .sgpr_spill_count: 0
    .symbol:         _ZN9rocsparseL39bsrgeam_block_per_row_multipass_kernel2ILj256ELj16E21rocsparse_complex_numIdEEEv20rocsparse_direction_iiiNS_24const_host_device_scalarIT1_EEPKiS8_PKS5_S6_S8_S8_SA_S8_PiPS5_21rocsparse_index_base_SD_SD_b.kd
    .uniform_work_group_size: 1
    .uses_dynamic_stack: false
    .vgpr_count:     30
    .vgpr_spill_count: 0
    .wavefront_size: 32
    .workgroup_processor_mode: 1
  - .args:
      - .offset:         0
        .size:           4
        .value_kind:     by_value
      - .offset:         4
        .size:           4
        .value_kind:     by_value
      - .offset:         8
        .size:           4
        .value_kind:     by_value
      - .offset:         12
        .size:           4
        .value_kind:     by_value
      - .offset:         16
        .size:           16
        .value_kind:     by_value
      - .actual_access:  read_only
        .address_space:  global
        .offset:         32
        .size:           8
        .value_kind:     global_buffer
      - .actual_access:  read_only
        .address_space:  global
        .offset:         40
        .size:           8
        .value_kind:     global_buffer
      - .actual_access:  read_only
        .address_space:  global
        .offset:         48
        .size:           8
        .value_kind:     global_buffer
      - .offset:         56
        .size:           16
        .value_kind:     by_value
      - .actual_access:  read_only
        .address_space:  global
        .offset:         72
        .size:           8
        .value_kind:     global_buffer
      - .actual_access:  read_only
        .address_space:  global
        .offset:         80
        .size:           8
        .value_kind:     global_buffer
      - .actual_access:  read_only
        .address_space:  global
        .offset:         88
        .size:           8
        .value_kind:     global_buffer
      - .actual_access:  read_only
        .address_space:  global
        .offset:         96
        .size:           8
        .value_kind:     global_buffer
      - .actual_access:  write_only
        .address_space:  global
        .offset:         104
        .size:           8
        .value_kind:     global_buffer
      - .actual_access:  write_only
        .address_space:  global
        .offset:         112
        .size:           8
        .value_kind:     global_buffer
      - .offset:         120
        .size:           4
        .value_kind:     by_value
      - .offset:         124
        .size:           4
        .value_kind:     by_value
      - .offset:         128
        .size:           4
        .value_kind:     by_value
      - .offset:         132
        .size:           1
        .value_kind:     by_value
    .group_segment_fixed_size: 16392
    .kernarg_segment_align: 8
    .kernarg_segment_size: 136
    .language:       OpenCL C
    .language_version:
      - 2
      - 0
    .max_flat_workgroup_size: 256
    .name:           _ZN9rocsparseL39bsrgeam_block_per_row_multipass_kernel2ILj256ELj32E21rocsparse_complex_numIdEEEv20rocsparse_direction_iiiNS_24const_host_device_scalarIT1_EEPKiS8_PKS5_S6_S8_S8_SA_S8_PiPS5_21rocsparse_index_base_SD_SD_b
    .private_segment_fixed_size: 16
    .sgpr_count:     42
    .sgpr_spill_count: 0
    .symbol:         _ZN9rocsparseL39bsrgeam_block_per_row_multipass_kernel2ILj256ELj32E21rocsparse_complex_numIdEEEv20rocsparse_direction_iiiNS_24const_host_device_scalarIT1_EEPKiS8_PKS5_S6_S8_S8_SA_S8_PiPS5_21rocsparse_index_base_SD_SD_b.kd
    .uniform_work_group_size: 1
    .uses_dynamic_stack: false
    .vgpr_count:     42
    .vgpr_spill_count: 0
    .wavefront_size: 32
    .workgroup_processor_mode: 1
amdhsa.target:   amdgcn-amd-amdhsa--gfx1201
amdhsa.version:
  - 1
  - 2
...

	.end_amdgpu_metadata
